;; amdgpu-corpus repo=ROCm/rocFFT kind=compiled arch=gfx950 opt=O3
	.text
	.amdgcn_target "amdgcn-amd-amdhsa--gfx950"
	.amdhsa_code_object_version 6
	.protected	fft_rtc_fwd_len945_factors_3_3_3_5_7_wgs_63_tpt_63_halfLds_dp_op_CI_CI_sbrr_dirReg ; -- Begin function fft_rtc_fwd_len945_factors_3_3_3_5_7_wgs_63_tpt_63_halfLds_dp_op_CI_CI_sbrr_dirReg
	.globl	fft_rtc_fwd_len945_factors_3_3_3_5_7_wgs_63_tpt_63_halfLds_dp_op_CI_CI_sbrr_dirReg
	.p2align	8
	.type	fft_rtc_fwd_len945_factors_3_3_3_5_7_wgs_63_tpt_63_halfLds_dp_op_CI_CI_sbrr_dirReg,@function
fft_rtc_fwd_len945_factors_3_3_3_5_7_wgs_63_tpt_63_halfLds_dp_op_CI_CI_sbrr_dirReg: ; @fft_rtc_fwd_len945_factors_3_3_3_5_7_wgs_63_tpt_63_halfLds_dp_op_CI_CI_sbrr_dirReg
; %bb.0:
	s_load_dwordx4 s[12:15], s[0:1], 0x18
	s_load_dwordx4 s[4:7], s[0:1], 0x0
	;; [unrolled: 1-line block ×3, first 2 shown]
	v_mul_u32_u24_e32 v1, 0x411, v0
	v_add_u32_sdwa v6, s2, v1 dst_sel:DWORD dst_unused:UNUSED_PAD src0_sel:DWORD src1_sel:WORD_1
	s_waitcnt lgkmcnt(0)
	s_load_dwordx2 s[18:19], s[12:13], 0x0
	s_load_dwordx2 s[16:17], s[14:15], 0x0
	v_mov_b32_e32 v2, 0
	v_cmp_lt_u64_e64 s[2:3], s[6:7], 2
	v_mov_b32_e32 v7, v2
	s_and_b64 vcc, exec, s[2:3]
	v_mov_b64_e32 v[4:5], 0
	s_cbranch_vccnz .LBB0_8
; %bb.1:
	s_load_dwordx2 s[2:3], s[0:1], 0x10
	s_add_u32 s20, s14, 8
	s_addc_u32 s21, s15, 0
	s_add_u32 s22, s12, 8
	s_addc_u32 s23, s13, 0
	s_waitcnt lgkmcnt(0)
	s_add_u32 s24, s2, 8
	v_mov_b64_e32 v[4:5], 0
	s_addc_u32 s25, s3, 0
	s_mov_b64 s[26:27], 1
	v_mov_b64_e32 v[124:125], v[4:5]
.LBB0_2:                                ; =>This Inner Loop Header: Depth=1
	s_load_dwordx2 s[28:29], s[24:25], 0x0
                                        ; implicit-def: $vgpr96_vgpr97
	s_waitcnt lgkmcnt(0)
	v_or_b32_e32 v3, s29, v7
	v_cmp_ne_u64_e32 vcc, 0, v[2:3]
	s_and_saveexec_b64 s[2:3], vcc
	s_xor_b64 s[30:31], exec, s[2:3]
	s_cbranch_execz .LBB0_4
; %bb.3:                                ;   in Loop: Header=BB0_2 Depth=1
	v_cvt_f32_u32_e32 v1, s28
	v_cvt_f32_u32_e32 v3, s29
	s_sub_u32 s2, 0, s28
	s_subb_u32 s3, 0, s29
	v_fmac_f32_e32 v1, 0x4f800000, v3
	v_rcp_f32_e32 v1, v1
	s_nop 0
	v_mul_f32_e32 v1, 0x5f7ffffc, v1
	v_mul_f32_e32 v3, 0x2f800000, v1
	v_trunc_f32_e32 v3, v3
	v_fmac_f32_e32 v1, 0xcf800000, v3
	v_cvt_u32_f32_e32 v3, v3
	v_cvt_u32_f32_e32 v1, v1
	v_mul_lo_u32 v8, s2, v3
	v_mul_hi_u32 v10, s2, v1
	v_mul_lo_u32 v9, s3, v1
	v_add_u32_e32 v10, v10, v8
	v_mul_lo_u32 v12, s2, v1
	v_add_u32_e32 v13, v10, v9
	v_mul_hi_u32 v8, v1, v12
	v_mul_hi_u32 v11, v1, v13
	v_mul_lo_u32 v10, v1, v13
	v_mov_b32_e32 v9, v2
	v_lshl_add_u64 v[8:9], v[8:9], 0, v[10:11]
	v_mul_hi_u32 v11, v3, v12
	v_mul_lo_u32 v12, v3, v12
	v_add_co_u32_e32 v8, vcc, v8, v12
	v_mul_hi_u32 v10, v3, v13
	s_nop 0
	v_addc_co_u32_e32 v8, vcc, v9, v11, vcc
	v_mov_b32_e32 v9, v2
	s_nop 0
	v_addc_co_u32_e32 v11, vcc, 0, v10, vcc
	v_mul_lo_u32 v10, v3, v13
	v_lshl_add_u64 v[8:9], v[8:9], 0, v[10:11]
	v_add_co_u32_e32 v1, vcc, v1, v8
	v_mul_lo_u32 v10, s2, v1
	s_nop 0
	v_addc_co_u32_e32 v3, vcc, v3, v9, vcc
	v_mul_lo_u32 v8, s2, v3
	v_mul_hi_u32 v9, s2, v1
	v_add_u32_e32 v8, v9, v8
	v_mul_lo_u32 v9, s3, v1
	v_add_u32_e32 v12, v8, v9
	v_mul_hi_u32 v14, v3, v10
	v_mul_lo_u32 v15, v3, v10
	v_mul_hi_u32 v9, v1, v12
	v_mul_lo_u32 v8, v1, v12
	v_mul_hi_u32 v10, v1, v10
	v_mov_b32_e32 v11, v2
	v_lshl_add_u64 v[8:9], v[10:11], 0, v[8:9]
	v_add_co_u32_e32 v8, vcc, v8, v15
	v_mul_hi_u32 v13, v3, v12
	s_nop 0
	v_addc_co_u32_e32 v8, vcc, v9, v14, vcc
	v_mul_lo_u32 v10, v3, v12
	s_nop 0
	v_addc_co_u32_e32 v11, vcc, 0, v13, vcc
	v_mov_b32_e32 v9, v2
	v_lshl_add_u64 v[8:9], v[8:9], 0, v[10:11]
	v_add_co_u32_e32 v1, vcc, v1, v8
	v_mul_hi_u32 v10, v6, v1
	s_nop 0
	v_addc_co_u32_e32 v3, vcc, v3, v9, vcc
	v_mad_u64_u32 v[8:9], s[2:3], v6, v3, 0
	v_mov_b32_e32 v11, v2
	v_lshl_add_u64 v[8:9], v[10:11], 0, v[8:9]
	v_mad_u64_u32 v[12:13], s[2:3], v7, v1, 0
	v_add_co_u32_e32 v1, vcc, v8, v12
	v_mad_u64_u32 v[10:11], s[2:3], v7, v3, 0
	s_nop 0
	v_addc_co_u32_e32 v8, vcc, v9, v13, vcc
	v_mov_b32_e32 v9, v2
	s_nop 0
	v_addc_co_u32_e32 v11, vcc, 0, v11, vcc
	v_lshl_add_u64 v[8:9], v[8:9], 0, v[10:11]
	v_mul_lo_u32 v1, s29, v8
	v_mul_lo_u32 v3, s28, v9
	v_mad_u64_u32 v[10:11], s[2:3], s28, v8, 0
	v_add3_u32 v1, v11, v3, v1
	v_sub_u32_e32 v3, v7, v1
	v_mov_b32_e32 v11, s29
	v_sub_co_u32_e32 v14, vcc, v6, v10
	v_lshl_add_u64 v[12:13], v[8:9], 0, 1
	s_nop 0
	v_subb_co_u32_e64 v3, s[2:3], v3, v11, vcc
	v_subrev_co_u32_e64 v10, s[2:3], s28, v14
	v_subb_co_u32_e32 v1, vcc, v7, v1, vcc
	s_nop 0
	v_subbrev_co_u32_e64 v3, s[2:3], 0, v3, s[2:3]
	v_cmp_le_u32_e64 s[2:3], s29, v3
	v_cmp_le_u32_e32 vcc, s29, v1
	s_nop 0
	v_cndmask_b32_e64 v11, 0, -1, s[2:3]
	v_cmp_le_u32_e64 s[2:3], s28, v10
	s_nop 1
	v_cndmask_b32_e64 v10, 0, -1, s[2:3]
	v_cmp_eq_u32_e64 s[2:3], s29, v3
	s_nop 1
	v_cndmask_b32_e64 v3, v11, v10, s[2:3]
	v_lshl_add_u64 v[10:11], v[8:9], 0, 2
	v_cmp_ne_u32_e64 s[2:3], 0, v3
	s_nop 1
	v_cndmask_b32_e64 v3, v13, v11, s[2:3]
	v_cndmask_b32_e64 v11, 0, -1, vcc
	v_cmp_le_u32_e32 vcc, s28, v14
	s_nop 1
	v_cndmask_b32_e64 v13, 0, -1, vcc
	v_cmp_eq_u32_e32 vcc, s29, v1
	s_nop 1
	v_cndmask_b32_e32 v1, v11, v13, vcc
	v_cmp_ne_u32_e32 vcc, 0, v1
	v_cndmask_b32_e64 v1, v12, v10, s[2:3]
	s_nop 0
	v_cndmask_b32_e32 v97, v9, v3, vcc
	v_cndmask_b32_e32 v96, v8, v1, vcc
.LBB0_4:                                ;   in Loop: Header=BB0_2 Depth=1
	s_andn2_saveexec_b64 s[2:3], s[30:31]
	s_cbranch_execz .LBB0_6
; %bb.5:                                ;   in Loop: Header=BB0_2 Depth=1
	v_cvt_f32_u32_e32 v1, s28
	s_sub_i32 s30, 0, s28
	v_mov_b32_e32 v97, v2
	v_rcp_iflag_f32_e32 v1, v1
	s_nop 0
	v_mul_f32_e32 v1, 0x4f7ffffe, v1
	v_cvt_u32_f32_e32 v1, v1
	v_mul_lo_u32 v3, s30, v1
	v_mul_hi_u32 v3, v1, v3
	v_add_u32_e32 v1, v1, v3
	v_mul_hi_u32 v1, v6, v1
	v_mul_lo_u32 v3, v1, s28
	v_sub_u32_e32 v3, v6, v3
	v_add_u32_e32 v8, 1, v1
	v_subrev_u32_e32 v9, s28, v3
	v_cmp_le_u32_e32 vcc, s28, v3
	s_nop 1
	v_cndmask_b32_e32 v3, v3, v9, vcc
	v_cndmask_b32_e32 v1, v1, v8, vcc
	v_add_u32_e32 v8, 1, v1
	v_cmp_le_u32_e32 vcc, s28, v3
	s_nop 1
	v_cndmask_b32_e32 v96, v1, v8, vcc
.LBB0_6:                                ;   in Loop: Header=BB0_2 Depth=1
	s_or_b64 exec, exec, s[2:3]
	v_mad_u64_u32 v[8:9], s[2:3], v96, s28, 0
	s_load_dwordx2 s[2:3], s[22:23], 0x0
	v_mul_lo_u32 v1, v97, s28
	v_mul_lo_u32 v3, v96, s29
	s_load_dwordx2 s[28:29], s[20:21], 0x0
	s_add_u32 s26, s26, 1
	v_add3_u32 v1, v9, v3, v1
	v_sub_co_u32_e32 v3, vcc, v6, v8
	s_addc_u32 s27, s27, 0
	s_nop 0
	v_subb_co_u32_e32 v1, vcc, v7, v1, vcc
	s_add_u32 s20, s20, 8
	s_waitcnt lgkmcnt(0)
	v_mul_lo_u32 v6, s2, v1
	v_mul_lo_u32 v7, s3, v3
	v_mad_u64_u32 v[4:5], s[2:3], s2, v3, v[4:5]
	s_addc_u32 s21, s21, 0
	v_add3_u32 v5, v7, v5, v6
	v_mul_lo_u32 v1, s28, v1
	v_mul_lo_u32 v6, s29, v3
	v_mad_u64_u32 v[124:125], s[2:3], s28, v3, v[124:125]
	s_add_u32 s22, s22, 8
	v_add3_u32 v125, v6, v125, v1
	s_addc_u32 s23, s23, 0
	v_mov_b64_e32 v[6:7], s[6:7]
	s_add_u32 s24, s24, 8
	v_cmp_ge_u64_e32 vcc, s[26:27], v[6:7]
	s_addc_u32 s25, s25, 0
	s_cbranch_vccnz .LBB0_9
; %bb.7:                                ;   in Loop: Header=BB0_2 Depth=1
	v_mov_b64_e32 v[6:7], v[96:97]
	s_branch .LBB0_2
.LBB0_8:
	v_mov_b64_e32 v[124:125], v[4:5]
	v_mov_b64_e32 v[96:97], v[6:7]
.LBB0_9:
	s_load_dwordx2 s[0:1], s[0:1], 0x28
	s_lshl_b64 s[6:7], s[6:7], 3
	s_add_u32 s2, s14, s6
	s_addc_u32 s3, s15, s7
                                        ; implicit-def: $vgpr140
                                        ; implicit-def: $vgpr92
                                        ; implicit-def: $vgpr141
                                        ; implicit-def: $vgpr72
                                        ; implicit-def: $vgpr73
	s_waitcnt lgkmcnt(0)
	v_cmp_gt_u64_e32 vcc, s[0:1], v[96:97]
	v_cmp_le_u64_e64 s[0:1], s[0:1], v[96:97]
	s_and_saveexec_b64 s[14:15], s[0:1]
	s_xor_b64 s[0:1], exec, s[14:15]
; %bb.10:
	s_mov_b32 s14, 0x4104105
	v_mul_hi_u32 v1, v0, s14
	v_mul_u32_u24_e32 v1, 63, v1
	v_sub_u32_e32 v140, v0, v1
	v_add_u32_e32 v92, 63, v140
	v_add_u32_e32 v141, 0x7e, v140
	v_add_u32_e32 v72, 0xbd, v140
	v_add_u32_e32 v73, 0xfc, v140
                                        ; implicit-def: $vgpr0
                                        ; implicit-def: $vgpr4_vgpr5
; %bb.11:
	s_or_saveexec_b64 s[0:1], s[0:1]
                                        ; implicit-def: $vgpr34_vgpr35
                                        ; implicit-def: $vgpr42_vgpr43
                                        ; implicit-def: $vgpr30_vgpr31
                                        ; implicit-def: $vgpr46_vgpr47
                                        ; implicit-def: $vgpr50_vgpr51
                                        ; implicit-def: $vgpr26_vgpr27
                                        ; implicit-def: $vgpr38_vgpr39
                                        ; implicit-def: $vgpr22_vgpr23
                                        ; implicit-def: $vgpr18_vgpr19
                                        ; implicit-def: $vgpr10_vgpr11
                                        ; implicit-def: $vgpr14_vgpr15
                                        ; implicit-def: $vgpr6_vgpr7
                                        ; implicit-def: $vgpr58_vgpr59
                                        ; implicit-def: $vgpr54_vgpr55
                                        ; implicit-def: $vgpr2_vgpr3
	s_xor_b64 exec, exec, s[0:1]
	s_cbranch_execz .LBB0_13
; %bb.12:
	s_add_u32 s6, s12, s6
	s_addc_u32 s7, s13, s7
	s_load_dwordx2 s[6:7], s[6:7], 0x0
	s_mov_b32 s12, 0x4104105
	s_waitcnt lgkmcnt(0)
	v_mul_lo_u32 v1, s7, v96
	v_mul_lo_u32 v6, s6, v97
	v_mad_u64_u32 v[2:3], s[6:7], s6, v96, 0
	v_add3_u32 v3, v3, v6, v1
	v_mul_hi_u32 v1, v0, s12
	v_mul_u32_u24_e32 v1, 63, v1
	v_sub_u32_e32 v140, v0, v1
	v_mad_u64_u32 v[0:1], s[6:7], s18, v140, 0
	v_mov_b32_e32 v6, v1
	v_mad_u64_u32 v[6:7], s[6:7], s19, v140, v[6:7]
	v_lshl_add_u64 v[2:3], v[2:3], 4, s[8:9]
	v_mov_b32_e32 v1, v6
	v_lshl_add_u64 v[28:29], v[4:5], 4, v[2:3]
	v_add_u32_e32 v3, 0x13b, v140
	v_lshl_add_u64 v[4:5], v[0:1], 4, v[28:29]
	v_mad_u64_u32 v[0:1], s[6:7], s18, v3, 0
	v_mov_b32_e32 v2, v1
	v_mad_u64_u32 v[2:3], s[6:7], s19, v3, v[2:3]
	v_mov_b32_e32 v1, v2
	v_lshl_add_u64 v[6:7], v[0:1], 4, v[28:29]
	global_load_dwordx4 v[0:3], v[4:5], off
	global_load_dwordx4 v[52:55], v[6:7], off
	v_add_u32_e32 v7, 0x276, v140
	v_mad_u64_u32 v[4:5], s[6:7], s18, v7, 0
	v_mov_b32_e32 v6, v5
	v_mad_u64_u32 v[6:7], s[6:7], s19, v7, v[6:7]
	v_mov_b32_e32 v5, v6
	v_add_u32_e32 v92, 63, v140
	v_lshl_add_u64 v[8:9], v[4:5], 4, v[28:29]
	v_mad_u64_u32 v[4:5], s[6:7], s18, v92, 0
	v_mov_b32_e32 v6, v5
	v_mad_u64_u32 v[6:7], s[6:7], s19, v92, v[6:7]
	v_mov_b32_e32 v5, v6
	v_lshl_add_u64 v[10:11], v[4:5], 4, v[28:29]
	global_load_dwordx4 v[56:59], v[8:9], off
	global_load_dwordx4 v[4:7], v[10:11], off
	v_add_u32_e32 v11, 0x17a, v140
	v_mad_u64_u32 v[8:9], s[6:7], s18, v11, 0
	v_mov_b32_e32 v10, v9
	v_mad_u64_u32 v[10:11], s[6:7], s19, v11, v[10:11]
	v_mov_b32_e32 v9, v10
	v_add_u32_e32 v11, 0x2b5, v140
	v_lshl_add_u64 v[16:17], v[8:9], 4, v[28:29]
	v_mad_u64_u32 v[8:9], s[6:7], s18, v11, 0
	v_mov_b32_e32 v10, v9
	v_mad_u64_u32 v[10:11], s[6:7], s19, v11, v[10:11]
	v_mov_b32_e32 v9, v10
	v_add_u32_e32 v141, 0x7e, v140
	v_lshl_add_u64 v[18:19], v[8:9], 4, v[28:29]
	global_load_dwordx4 v[12:15], v[16:17], off
	global_load_dwordx4 v[8:11], v[18:19], off
	v_mad_u64_u32 v[16:17], s[6:7], s18, v141, 0
	v_mov_b32_e32 v18, v17
	v_mad_u64_u32 v[18:19], s[6:7], s19, v141, v[18:19]
	v_mov_b32_e32 v17, v18
	v_add_u32_e32 v19, 0x1b9, v140
	v_lshl_add_u64 v[24:25], v[16:17], 4, v[28:29]
	v_mad_u64_u32 v[16:17], s[6:7], s18, v19, 0
	v_mov_b32_e32 v18, v17
	v_mad_u64_u32 v[18:19], s[6:7], s19, v19, v[18:19]
	v_mov_b32_e32 v17, v18
	v_lshl_add_u64 v[26:27], v[16:17], 4, v[28:29]
	global_load_dwordx4 v[16:19], v[24:25], off
	global_load_dwordx4 v[20:23], v[26:27], off
	v_add_u32_e32 v27, 0x2f4, v140
	v_mad_u64_u32 v[24:25], s[6:7], s18, v27, 0
	v_mov_b32_e32 v26, v25
	v_mad_u64_u32 v[26:27], s[6:7], s19, v27, v[26:27]
	v_mov_b32_e32 v25, v26
	v_add_u32_e32 v72, 0xbd, v140
	v_lshl_add_u64 v[30:31], v[24:25], 4, v[28:29]
	v_mad_u64_u32 v[24:25], s[6:7], s18, v72, 0
	v_mov_b32_e32 v26, v25
	v_mad_u64_u32 v[26:27], s[6:7], s19, v72, v[26:27]
	v_mov_b32_e32 v25, v26
	v_lshl_add_u64 v[32:33], v[24:25], 4, v[28:29]
	v_add_u32_e32 v25, 0x1f8, v140
	v_mad_u64_u32 v[34:35], s[6:7], s18, v25, 0
	v_mov_b32_e32 v24, v35
	v_mad_u64_u32 v[24:25], s[6:7], s19, v25, v[24:25]
	v_add_u32_e32 v25, 0x333, v140
	v_mad_u64_u32 v[40:41], s[6:7], s18, v25, 0
	v_mov_b32_e32 v35, v24
	v_mov_b32_e32 v24, v41
	v_add_u32_e32 v73, 0xfc, v140
	v_mad_u64_u32 v[24:25], s[6:7], s19, v25, v[24:25]
	v_mad_u64_u32 v[42:43], s[6:7], s18, v73, 0
	v_mov_b32_e32 v41, v24
	v_mov_b32_e32 v24, v43
	v_mad_u64_u32 v[24:25], s[6:7], s19, v73, v[24:25]
	v_add_u32_e32 v25, 0x237, v140
	v_mad_u64_u32 v[44:45], s[6:7], s18, v25, 0
	v_mov_b32_e32 v43, v24
	v_mov_b32_e32 v24, v45
	v_mad_u64_u32 v[24:25], s[6:7], s19, v25, v[24:25]
	v_add_u32_e32 v25, 0x372, v140
	v_mad_u64_u32 v[46:47], s[6:7], s18, v25, 0
	v_mov_b32_e32 v45, v24
	v_mov_b32_e32 v24, v47
	v_mad_u64_u32 v[24:25], s[6:7], s19, v25, v[24:25]
	v_mov_b32_e32 v47, v24
	v_lshl_add_u64 v[60:61], v[34:35], 4, v[28:29]
	global_load_dwordx4 v[36:39], v[30:31], off
	global_load_dwordx4 v[24:27], v[32:33], off
	v_lshl_add_u64 v[62:63], v[40:41], 4, v[28:29]
	v_lshl_add_u64 v[64:65], v[42:43], 4, v[28:29]
	;; [unrolled: 1-line block ×4, first 2 shown]
	global_load_dwordx4 v[48:51], v[60:61], off
	global_load_dwordx4 v[44:47], v[62:63], off
	;; [unrolled: 1-line block ×5, first 2 shown]
.LBB0_13:
	s_or_b64 exec, exec, s[0:1]
	s_waitcnt vmcnt(12)
	v_add_f64 v[62:63], v[56:57], v[52:53]
	s_mov_b32 s0, 0xe8584caa
	v_add_f64 v[60:61], v[52:53], v[0:1]
	v_add_f64 v[64:65], v[54:55], -v[58:59]
	v_fmac_f64_e32 v[0:1], -0.5, v[62:63]
	s_mov_b32 s1, 0x3febb67a
	v_add_f64 v[76:77], v[52:53], -v[56:57]
	v_add_f64 v[52:53], v[56:57], v[60:61]
	v_fma_f64 v[56:57], s[0:1], v[64:65], v[0:1]
	v_mad_u32_u24 v75, v140, 24, 0
	s_mov_b32 s7, 0xbfebb67a
	s_mov_b32 s6, s0
	ds_write2_b64 v75, v[52:53], v[56:57] offset1:1
	s_waitcnt vmcnt(9)
	v_add_f64 v[56:57], v[8:9], v[12:13]
	v_fmac_f64_e32 v[0:1], s[6:7], v[64:65]
	v_add_f64 v[52:53], v[12:13], v[4:5]
	v_fmac_f64_e32 v[4:5], -0.5, v[56:57]
	v_add_f64 v[56:57], v[14:15], -v[10:11]
	v_add_f64 v[52:53], v[8:9], v[52:53]
	ds_write_b64 v75, v[0:1] offset:16
	v_mad_i32_i24 v93, v92, 24, 0
	v_fma_f64 v[0:1], s[0:1], v[56:57], v[4:5]
	ds_write2_b64 v93, v[52:53], v[0:1] offset1:1
	v_fmac_f64_e32 v[4:5], s[6:7], v[56:57]
	s_waitcnt vmcnt(6)
	v_add_f64 v[52:53], v[36:37], v[20:21]
	v_add_f64 v[0:1], v[20:21], v[16:17]
	v_fmac_f64_e32 v[16:17], -0.5, v[52:53]
	ds_write_b64 v93, v[4:5] offset:16
	v_add_f64 v[4:5], v[22:23], -v[38:39]
	v_add_f64 v[0:1], v[36:37], v[0:1]
	v_mad_i32_i24 v101, v141, 24, 0
	v_fma_f64 v[52:53], s[0:1], v[4:5], v[16:17]
	v_fmac_f64_e32 v[16:17], s[6:7], v[4:5]
	s_waitcnt vmcnt(3)
	v_add_f64 v[4:5], v[44:45], v[48:49]
	ds_write2_b64 v101, v[0:1], v[52:53] offset1:1
	v_add_f64 v[0:1], v[48:49], v[24:25]
	v_fmac_f64_e32 v[24:25], -0.5, v[4:5]
	v_add_f64 v[4:5], v[50:51], -v[46:47]
	v_add_f64 v[0:1], v[44:45], v[0:1]
	ds_write_b64 v101, v[16:17] offset:16
	v_mad_i32_i24 v84, v72, 24, 0
	v_fma_f64 v[16:17], s[0:1], v[4:5], v[24:25]
	v_fmac_f64_e32 v[24:25], s[6:7], v[4:5]
	s_waitcnt vmcnt(0)
	v_add_f64 v[4:5], v[32:33], v[40:41]
	ds_write2_b64 v84, v[0:1], v[16:17] offset1:1
	v_add_f64 v[0:1], v[40:41], v[28:29]
	v_fmac_f64_e32 v[28:29], -0.5, v[4:5]
	v_add_f64 v[4:5], v[42:43], -v[34:35]
	v_add_f64 v[0:1], v[32:33], v[0:1]
	v_mad_i32_i24 v85, v73, 24, 0
	v_fma_f64 v[16:17], s[0:1], v[4:5], v[28:29]
	v_add_f64 v[66:67], v[54:55], v[2:3]
	v_add_f64 v[54:55], v[58:59], v[54:55]
	ds_write_b64 v84, v[24:25] offset:16
	ds_write2_b64 v85, v[0:1], v[16:17] offset1:1
	v_lshlrev_b32_e32 v0, 4, v140
	v_fmac_f64_e32 v[2:3], -0.5, v[54:55]
	v_sub_u32_e32 v94, v75, v0
	v_lshlrev_b32_e32 v0, 4, v72
	v_fmac_f64_e32 v[28:29], s[6:7], v[4:5]
	v_sub_u32_e32 v82, v84, v0
	v_lshlrev_b32_e32 v0, 4, v73
	v_lshlrev_b32_e32 v103, 4, v92
	;; [unrolled: 1-line block ×3, first 2 shown]
	v_fma_f64 v[80:81], s[6:7], v[76:77], v[2:3]
	v_fmac_f64_e32 v[2:3], s[0:1], v[76:77]
	v_add_f64 v[78:79], v[58:59], v[66:67]
	s_load_dwordx2 s[2:3], s[2:3], 0x0
	ds_write_b64 v85, v[28:29] offset:16
	s_waitcnt lgkmcnt(0)
	; wave barrier
	s_waitcnt lgkmcnt(0)
	v_sub_u32_e32 v74, v85, v0
	v_add_u32_e32 v100, 0x800, v94
	v_add_u32_e32 v95, 0x1000, v94
	v_sub_u32_e32 v98, v93, v103
	v_sub_u32_e32 v83, v101, v104
	v_add_u32_e32 v102, 0x1800, v94
	ds_read_b64 v[28:29], v94
	ds_read_b64 v[24:25], v98
	;; [unrolled: 1-line block ×5, first 2 shown]
	ds_read2_b64 v[68:71], v100 offset0:59 offset1:122
	ds_read2_b64 v[56:59], v95 offset0:55 offset1:118
	;; [unrolled: 1-line block ×5, first 2 shown]
	s_waitcnt lgkmcnt(0)
	; wave barrier
	s_waitcnt lgkmcnt(0)
	ds_write_b64 v75, v[2:3] offset:16
	v_add_f64 v[2:3], v[14:15], v[6:7]
	v_add_f64 v[14:15], v[10:11], v[14:15]
	v_add_f64 v[8:9], v[12:13], -v[8:9]
	v_add_f64 v[12:13], v[38:39], v[22:23]
	v_fmac_f64_e32 v[6:7], -0.5, v[14:15]
	v_add_f64 v[2:3], v[10:11], v[2:3]
	v_add_f64 v[10:11], v[22:23], v[18:19]
	v_add_f64 v[20:21], v[20:21], -v[36:37]
	v_add_f64 v[36:37], v[46:47], v[50:51]
	v_fma_f64 v[14:15], s[6:7], v[8:9], v[6:7]
	v_fmac_f64_e32 v[18:19], -0.5, v[12:13]
	ds_write2_b64 v75, v[78:79], v[80:81] offset1:1
	v_add_f64 v[10:11], v[38:39], v[10:11]
	v_add_f64 v[22:23], v[50:51], v[26:27]
	v_add_f64 v[38:39], v[48:49], -v[44:45]
	v_add_f64 v[44:45], v[42:43], v[30:31]
	v_add_f64 v[42:43], v[34:35], v[42:43]
	ds_write2_b64 v93, v[2:3], v[14:15] offset1:1
	v_fmac_f64_e32 v[6:7], s[0:1], v[8:9]
	v_fma_f64 v[2:3], s[6:7], v[20:21], v[18:19]
	v_fmac_f64_e32 v[26:27], -0.5, v[36:37]
	v_add_f64 v[22:23], v[46:47], v[22:23]
	v_add_f64 v[32:33], v[40:41], -v[32:33]
	ds_write_b64 v93, v[6:7] offset:16
	ds_write2_b64 v101, v[10:11], v[2:3] offset1:1
	v_fmac_f64_e32 v[18:19], s[0:1], v[20:21]
	v_fma_f64 v[2:3], s[6:7], v[38:39], v[26:27]
	v_fmac_f64_e32 v[30:31], -0.5, v[42:43]
	s_movk_i32 s8, 0xab
	v_add_f64 v[34:35], v[34:35], v[44:45]
	ds_write_b64 v101, v[18:19] offset:16
	v_fmac_f64_e32 v[26:27], s[0:1], v[38:39]
	v_fma_f64 v[6:7], s[6:7], v[32:33], v[30:31]
	v_fmac_f64_e32 v[30:31], s[0:1], v[32:33]
	ds_write2_b64 v84, v[22:23], v[2:3] offset1:1
	ds_write_b64 v84, v[26:27] offset:16
	ds_write2_b64 v85, v[34:35], v[6:7] offset1:1
	ds_write_b64 v85, v[30:31] offset:16
	v_mul_lo_u16_sdwa v2, v140, s8 dst_sel:DWORD dst_unused:UNUSED_PAD src0_sel:BYTE_0 src1_sel:DWORD
	v_lshrrev_b16_e32 v26, 9, v2
	v_mul_lo_u16_e32 v2, 3, v26
	v_sub_u16_e32 v27, v140, v2
	v_mov_b32_e32 v31, 5
	v_lshlrev_b32_sdwa v2, v31, v27 dst_sel:DWORD dst_unused:UNUSED_PAD src0_sel:DWORD src1_sel:BYTE_0
	s_waitcnt lgkmcnt(0)
	; wave barrier
	s_waitcnt lgkmcnt(0)
	global_load_dwordx4 v[6:9], v2, s[4:5]
	v_mul_lo_u16_sdwa v3, v92, s8 dst_sel:DWORD dst_unused:UNUSED_PAD src0_sel:BYTE_0 src1_sel:DWORD
	v_lshrrev_b16_e32 v75, 9, v3
	v_mul_lo_u16_e32 v3, 3, v75
	v_sub_u16_e32 v99, v92, v3
	v_lshlrev_b32_sdwa v3, v31, v99 dst_sel:DWORD dst_unused:UNUSED_PAD src0_sel:DWORD src1_sel:BYTE_0
	global_load_dwordx4 v[10:13], v3, s[4:5]
	global_load_dwordx4 v[18:21], v3, s[4:5] offset:16
	v_mul_lo_u16_sdwa v3, v141, s8 dst_sel:DWORD dst_unused:UNUSED_PAD src0_sel:BYTE_0 src1_sel:DWORD
	v_lshrrev_b16_e32 v105, 9, v3
	v_mul_lo_u16_e32 v3, 3, v105
	v_sub_u16_e32 v106, v141, v3
	v_lshlrev_b32_sdwa v3, v31, v106 dst_sel:DWORD dst_unused:UNUSED_PAD src0_sel:DWORD src1_sel:BYTE_0
	global_load_dwordx4 v[32:35], v3, s[4:5] offset:16
	global_load_dwordx4 v[36:39], v3, s[4:5]
	v_mul_lo_u16_sdwa v3, v72, s8 dst_sel:DWORD dst_unused:UNUSED_PAD src0_sel:BYTE_0 src1_sel:DWORD
	v_lshrrev_b16_e32 v107, 9, v3
	v_mul_lo_u16_e32 v3, 3, v107
	v_sub_u16_e32 v108, v72, v3
	v_lshlrev_b32_sdwa v3, v31, v108 dst_sel:DWORD dst_unused:UNUSED_PAD src0_sel:DWORD src1_sel:BYTE_0
	global_load_dwordx4 v[40:43], v3, s[4:5]
	global_load_dwordx4 v[44:47], v2, s[4:5] offset:16
	s_mov_b32 s8, 0xaaab
	v_mul_u32_u24_sdwa v2, v73, s8 dst_sel:DWORD dst_unused:UNUSED_PAD src0_sel:WORD_0 src1_sel:DWORD
	v_lshrrev_b32_e32 v109, 17, v2
	v_mul_lo_u16_e32 v2, 3, v109
	v_sub_u16_e32 v110, v73, v2
	v_lshlrev_b32_e32 v2, 5, v110
	global_load_dwordx4 v[48:51], v2, s[4:5]
	global_load_dwordx4 v[76:79], v3, s[4:5] offset:16
	global_load_dwordx4 v[84:87], v2, s[4:5] offset:16
	ds_read2_b64 v[88:91], v100 offset0:59 offset1:122
	v_mov_b32_e32 v30, 3
	s_mov_b32 s8, 0xe38f
	s_mov_b32 s14, 0x134454ff
	;; [unrolled: 1-line block ×6, first 2 shown]
	v_sub_u32_e32 v103, 0, v103
	s_waitcnt vmcnt(9) lgkmcnt(0)
	v_mul_f64 v[2:3], v[88:89], v[8:9]
	v_mul_f64 v[14:15], v[68:69], v[8:9]
	v_fma_f64 v[2:3], v[68:69], v[6:7], -v[2:3]
	v_fmac_f64_e32 v[14:15], v[88:89], v[6:7]
	ds_read2_b64 v[6:9], v95 offset0:181 offset1:244
	s_waitcnt vmcnt(8)
	v_mul_f64 v[22:23], v[90:91], v[12:13]
	v_fma_f64 v[68:69], v[70:71], v[10:11], -v[22:23]
	v_mul_f64 v[70:71], v[70:71], v[12:13]
	v_fmac_f64_e32 v[70:71], v[90:91], v[10:11]
	s_waitcnt vmcnt(7) lgkmcnt(0)
	v_mul_f64 v[10:11], v[6:7], v[20:21]
	v_fma_f64 v[80:81], v[64:65], v[18:19], -v[10:11]
	ds_read2_b64 v[10:13], v100 offset0:185 offset1:248
	v_mul_f64 v[64:65], v[64:65], v[20:21]
	v_fmac_f64_e32 v[64:65], v[6:7], v[18:19]
	s_waitcnt vmcnt(6)
	v_mul_f64 v[6:7], v[8:9], v[34:35]
	v_fma_f64 v[88:89], v[66:67], v[32:33], -v[6:7]
	v_mul_f64 v[34:35], v[66:67], v[34:35]
	s_waitcnt vmcnt(5) lgkmcnt(0)
	v_mul_f64 v[6:7], v[10:11], v[38:39]
	v_fmac_f64_e32 v[34:35], v[8:9], v[32:33]
	v_fma_f64 v[32:33], v[60:61], v[36:37], -v[6:7]
	ds_read2_b64 v[6:9], v95 offset0:55 offset1:118
	v_mul_f64 v[38:39], v[60:61], v[38:39]
	v_fmac_f64_e32 v[38:39], v[10:11], v[36:37]
	s_waitcnt vmcnt(4)
	v_mul_f64 v[10:11], v[12:13], v[42:43]
	v_fma_f64 v[36:37], v[62:63], v[40:41], -v[10:11]
	v_mul_f64 v[42:43], v[62:63], v[42:43]
	s_waitcnt vmcnt(3) lgkmcnt(0)
	v_mul_f64 v[10:11], v[8:9], v[46:47]
	v_mul_f64 v[18:19], v[58:59], v[46:47]
	v_fmac_f64_e32 v[42:43], v[12:13], v[40:41]
	v_fma_f64 v[12:13], v[58:59], v[44:45], -v[10:11]
	v_fmac_f64_e32 v[18:19], v[8:9], v[44:45]
	ds_read2_b64 v[8:11], v102 offset0:51 offset1:114
	s_waitcnt vmcnt(2)
	v_mul_f64 v[20:21], v[6:7], v[50:51]
	v_mul_f64 v[44:45], v[56:57], v[50:51]
	v_fma_f64 v[40:41], v[56:57], v[48:49], -v[20:21]
	v_fmac_f64_e32 v[44:45], v[6:7], v[48:49]
	s_waitcnt vmcnt(1) lgkmcnt(0)
	v_mul_f64 v[6:7], v[8:9], v[78:79]
	v_mul_f64 v[48:49], v[52:53], v[78:79]
	v_fma_f64 v[46:47], v[52:53], v[76:77], -v[6:7]
	v_fmac_f64_e32 v[48:49], v[8:9], v[76:77]
	s_waitcnt vmcnt(0)
	v_mul_f64 v[6:7], v[10:11], v[86:87]
	v_add_f64 v[8:9], v[2:3], v[12:13]
	v_fma_f64 v[50:51], v[54:55], v[84:85], -v[6:7]
	v_mul_f64 v[52:53], v[54:55], v[86:87]
	v_add_f64 v[6:7], v[28:29], v[2:3]
	v_fmac_f64_e32 v[28:29], -0.5, v[8:9]
	v_mul_u32_u24_e32 v8, 0x48, v26
	v_lshlrev_b32_sdwa v9, v30, v27 dst_sel:DWORD dst_unused:UNUSED_PAD src0_sel:DWORD src1_sel:BYTE_0
	v_fmac_f64_e32 v[52:53], v[10:11], v[84:85]
	v_add3_u32 v84, 0, v8, v9
	v_add_f64 v[8:9], v[14:15], -v[18:19]
	v_add_f64 v[6:7], v[6:7], v[12:13]
	v_fma_f64 v[10:11], s[0:1], v[8:9], v[28:29]
	v_fmac_f64_e32 v[28:29], s[6:7], v[8:9]
	v_add_f64 v[8:9], v[68:69], v[80:81]
	ds_read_b64 v[54:55], v94
	ds_read_b64 v[56:57], v98
	;; [unrolled: 1-line block ×5, first 2 shown]
	s_waitcnt lgkmcnt(0)
	; wave barrier
	s_waitcnt lgkmcnt(0)
	ds_write2_b64 v84, v[6:7], v[10:11] offset1:3
	v_add_f64 v[6:7], v[24:25], v[68:69]
	v_fmac_f64_e32 v[24:25], -0.5, v[8:9]
	v_mul_u32_u24_e32 v8, 0x48, v75
	v_lshlrev_b32_sdwa v9, v30, v99 dst_sel:DWORD dst_unused:UNUSED_PAD src0_sel:DWORD src1_sel:BYTE_0
	v_add3_u32 v75, 0, v8, v9
	v_add_f64 v[8:9], v[70:71], -v[64:65]
	v_add_f64 v[6:7], v[6:7], v[80:81]
	v_fma_f64 v[10:11], s[0:1], v[8:9], v[24:25]
	v_fmac_f64_e32 v[24:25], s[6:7], v[8:9]
	v_add_f64 v[8:9], v[32:33], v[88:89]
	ds_write_b64 v84, v[28:29] offset:48
	ds_write2_b64 v75, v[6:7], v[10:11] offset1:3
	v_add_f64 v[6:7], v[16:17], v[32:33]
	v_fmac_f64_e32 v[16:17], -0.5, v[8:9]
	v_mul_u32_u24_e32 v8, 0x48, v105
	v_lshlrev_b32_sdwa v9, v30, v106 dst_sel:DWORD dst_unused:UNUSED_PAD src0_sel:DWORD src1_sel:BYTE_0
	v_add3_u32 v85, 0, v8, v9
	v_add_f64 v[8:9], v[38:39], -v[34:35]
	v_add_f64 v[6:7], v[6:7], v[88:89]
	v_fma_f64 v[10:11], s[0:1], v[8:9], v[16:17]
	v_fmac_f64_e32 v[16:17], s[6:7], v[8:9]
	v_add_f64 v[8:9], v[36:37], v[46:47]
	ds_write_b64 v75, v[24:25] offset:48
	ds_write2_b64 v85, v[6:7], v[10:11] offset1:3
	v_add_f64 v[6:7], v[4:5], v[36:37]
	v_fmac_f64_e32 v[4:5], -0.5, v[8:9]
	v_mul_u32_u24_e32 v8, 0x48, v107
	v_lshlrev_b32_sdwa v9, v30, v108 dst_sel:DWORD dst_unused:UNUSED_PAD src0_sel:DWORD src1_sel:BYTE_0
	v_add3_u32 v86, 0, v8, v9
	v_add_f64 v[8:9], v[42:43], -v[48:49]
	v_add_f64 v[6:7], v[6:7], v[46:47]
	v_fma_f64 v[10:11], s[0:1], v[8:9], v[4:5]
	v_fmac_f64_e32 v[4:5], s[6:7], v[8:9]
	ds_write_b64 v85, v[16:17] offset:48
	ds_write2_b64 v86, v[6:7], v[10:11] offset1:3
	v_add_f64 v[6:7], v[0:1], v[40:41]
	v_add_f64 v[8:9], v[40:41], v[50:51]
	ds_write_b64 v86, v[4:5] offset:48
	v_mul_u32_u24_e32 v4, 0x48, v109
	v_lshlrev_b32_e32 v5, 3, v110
	v_fmac_f64_e32 v[0:1], -0.5, v[8:9]
	v_add3_u32 v87, 0, v4, v5
	v_add_f64 v[4:5], v[6:7], v[50:51]
	v_add_f64 v[6:7], v[44:45], -v[52:53]
	v_fma_f64 v[8:9], s[0:1], v[6:7], v[0:1]
	ds_write2_b64 v87, v[4:5], v[8:9] offset1:3
	v_add_f64 v[4:5], v[54:55], v[14:15]
	v_add_f64 v[66:67], v[4:5], v[18:19]
	v_add_f64 v[4:5], v[14:15], v[18:19]
	v_fmac_f64_e32 v[54:55], -0.5, v[4:5]
	v_add_f64 v[76:77], v[2:3], -v[12:13]
	v_fmac_f64_e32 v[0:1], s[6:7], v[6:7]
	v_fma_f64 v[78:79], s[6:7], v[76:77], v[54:55]
	v_fmac_f64_e32 v[54:55], s[0:1], v[76:77]
	ds_write_b64 v87, v[0:1] offset:48
	s_waitcnt lgkmcnt(0)
	; wave barrier
	s_waitcnt lgkmcnt(0)
	ds_read_b64 v[28:29], v94
	ds_read_b64 v[26:27], v98
	;; [unrolled: 1-line block ×5, first 2 shown]
	ds_read2_b64 v[16:19], v100 offset0:59 offset1:122
	ds_read2_b64 v[4:7], v95 offset0:55 offset1:118
	;; [unrolled: 1-line block ×5, first 2 shown]
	s_waitcnt lgkmcnt(0)
	; wave barrier
	s_waitcnt lgkmcnt(0)
	ds_write_b64 v84, v[54:55] offset:48
	v_add_f64 v[54:55], v[56:57], v[70:71]
	v_add_f64 v[54:55], v[54:55], v[64:65]
	;; [unrolled: 1-line block ×3, first 2 shown]
	v_fmac_f64_e32 v[56:57], -0.5, v[64:65]
	v_add_f64 v[64:65], v[68:69], -v[80:81]
	ds_write2_b64 v84, v[66:67], v[78:79] offset1:3
	v_fma_f64 v[66:67], s[6:7], v[64:65], v[56:57]
	ds_write2_b64 v75, v[54:55], v[66:67] offset1:3
	v_add_f64 v[54:55], v[58:59], v[38:39]
	v_add_f64 v[54:55], v[54:55], v[34:35]
	;; [unrolled: 1-line block ×3, first 2 shown]
	v_fmac_f64_e32 v[58:59], -0.5, v[34:35]
	v_add_f64 v[32:33], v[32:33], -v[88:89]
	v_fmac_f64_e32 v[56:57], s[0:1], v[64:65]
	v_fma_f64 v[34:35], s[6:7], v[32:33], v[58:59]
	ds_write_b64 v75, v[56:57] offset:48
	ds_write2_b64 v85, v[54:55], v[34:35] offset1:3
	v_add_f64 v[34:35], v[42:43], v[48:49]
	v_fmac_f64_e32 v[58:59], s[0:1], v[32:33]
	v_add_f64 v[32:33], v[60:61], v[42:43]
	v_fmac_f64_e32 v[60:61], -0.5, v[34:35]
	v_add_f64 v[34:35], v[36:37], -v[46:47]
	v_fma_f64 v[36:37], s[6:7], v[34:35], v[60:61]
	v_fmac_f64_e32 v[60:61], s[0:1], v[34:35]
	v_add_f64 v[34:35], v[62:63], v[44:45]
	v_add_f64 v[38:39], v[44:45], v[52:53]
	;; [unrolled: 1-line block ×4, first 2 shown]
	v_fmac_f64_e32 v[62:63], -0.5, v[38:39]
	v_add_f64 v[38:39], v[40:41], -v[50:51]
	v_mov_b32_e32 v52, 57
	v_fma_f64 v[40:41], s[6:7], v[38:39], v[62:63]
	v_fmac_f64_e32 v[62:63], s[0:1], v[38:39]
	ds_write_b64 v85, v[58:59] offset:48
	ds_write2_b64 v86, v[32:33], v[36:37] offset1:3
	ds_write_b64 v86, v[60:61] offset:48
	ds_write2_b64 v87, v[34:35], v[40:41] offset1:3
	ds_write_b64 v87, v[62:63] offset:48
	v_mul_lo_u16_sdwa v32, v140, v52 dst_sel:DWORD dst_unused:UNUSED_PAD src0_sel:BYTE_0 src1_sel:DWORD
	v_lshrrev_b16_e32 v75, 9, v32
	v_mul_lo_u16_e32 v32, 9, v75
	v_sub_u16_e32 v84, v140, v32
	v_lshlrev_b32_sdwa v60, v31, v84 dst_sel:DWORD dst_unused:UNUSED_PAD src0_sel:DWORD src1_sel:BYTE_0
	s_waitcnt lgkmcnt(0)
	; wave barrier
	s_waitcnt lgkmcnt(0)
	global_load_dwordx4 v[32:35], v60, s[4:5] offset:96
	v_mul_lo_u16_sdwa v36, v92, v52 dst_sel:DWORD dst_unused:UNUSED_PAD src0_sel:BYTE_0 src1_sel:DWORD
	v_lshrrev_b16_e32 v85, 9, v36
	v_mul_lo_u16_e32 v36, 9, v85
	v_sub_u16_e32 v86, v92, v36
	v_lshlrev_b32_sdwa v44, v31, v86 dst_sel:DWORD dst_unused:UNUSED_PAD src0_sel:DWORD src1_sel:BYTE_0
	global_load_dwordx4 v[36:39], v44, s[4:5] offset:96
	global_load_dwordx4 v[40:43], v44, s[4:5] offset:112
	v_mul_lo_u16_sdwa v44, v141, v52 dst_sel:DWORD dst_unused:UNUSED_PAD src0_sel:BYTE_0 src1_sel:DWORD
	v_lshrrev_b16_e32 v87, 9, v44
	v_mul_lo_u16_e32 v44, 9, v87
	v_sub_u16_e32 v88, v141, v44
	v_lshlrev_b32_sdwa v53, v31, v88 dst_sel:DWORD dst_unused:UNUSED_PAD src0_sel:DWORD src1_sel:BYTE_0
	global_load_dwordx4 v[44:47], v53, s[4:5] offset:112
	;; [unrolled: 7-line block ×3, first 2 shown]
	global_load_dwordx4 v[56:59], v60, s[4:5] offset:112
	v_mul_u32_u24_sdwa v60, v73, s8 dst_sel:DWORD dst_unused:UNUSED_PAD src0_sel:WORD_0 src1_sel:DWORD
	v_lshrrev_b32_e32 v91, 19, v60
	v_mul_lo_u16_e32 v60, 9, v91
	v_sub_u16_e32 v99, v73, v60
	v_lshlrev_b32_e32 v72, 5, v99
	global_load_dwordx4 v[60:63], v72, s[4:5] offset:96
	global_load_dwordx4 v[64:67], v31, s[4:5] offset:112
	global_load_dwordx4 v[68:71], v72, s[4:5] offset:112
	ds_read2_b64 v[76:79], v100 offset0:59 offset1:122
	s_mov_b32 s8, 0x4755a5e
	s_mov_b32 s9, 0x3fe2cf23
	;; [unrolled: 1-line block ×3, first 2 shown]
	s_waitcnt vmcnt(9) lgkmcnt(0)
	v_mul_f64 v[72:73], v[76:77], v[34:35]
	v_mul_f64 v[80:81], v[16:17], v[34:35]
	v_fma_f64 v[72:73], v[16:17], v[32:33], -v[72:73]
	v_fmac_f64_e32 v[80:81], v[76:77], v[32:33]
	ds_read2_b64 v[32:35], v95 offset0:181 offset1:244
	s_waitcnt vmcnt(8)
	v_mul_f64 v[16:17], v[78:79], v[38:39]
	v_fma_f64 v[76:77], v[18:19], v[36:37], -v[16:17]
	v_mul_f64 v[38:39], v[18:19], v[38:39]
	v_fmac_f64_e32 v[38:39], v[78:79], v[36:37]
	s_waitcnt vmcnt(7) lgkmcnt(0)
	v_mul_f64 v[16:17], v[32:33], v[42:43]
	v_fma_f64 v[36:37], v[12:13], v[40:41], -v[16:17]
	ds_read2_b64 v[16:19], v100 offset0:185 offset1:248
	v_mul_f64 v[42:43], v[12:13], v[42:43]
	s_waitcnt vmcnt(6)
	v_mul_f64 v[12:13], v[34:35], v[46:47]
	v_fmac_f64_e32 v[42:43], v[32:33], v[40:41]
	v_fma_f64 v[32:33], v[14:15], v[44:45], -v[12:13]
	v_mul_f64 v[40:41], v[14:15], v[46:47]
	s_waitcnt vmcnt(5) lgkmcnt(0)
	v_mul_f64 v[12:13], v[16:17], v[50:51]
	v_fmac_f64_e32 v[40:41], v[34:35], v[44:45]
	v_fma_f64 v[34:35], v[8:9], v[48:49], -v[12:13]
	ds_read2_b64 v[12:15], v95 offset0:55 offset1:118
	v_mul_f64 v[44:45], v[8:9], v[50:51]
	s_waitcnt vmcnt(4)
	v_mul_f64 v[8:9], v[18:19], v[54:55]
	v_fma_f64 v[46:47], v[10:11], v[52:53], -v[8:9]
	v_fmac_f64_e32 v[44:45], v[16:17], v[48:49]
	s_waitcnt vmcnt(3) lgkmcnt(0)
	v_mul_f64 v[8:9], v[14:15], v[58:59]
	v_mul_f64 v[48:49], v[10:11], v[54:55]
	v_fma_f64 v[10:11], v[6:7], v[56:57], -v[8:9]
	v_mul_f64 v[16:17], v[6:7], v[58:59]
	ds_read2_b64 v[6:9], v102 offset0:51 offset1:114
	v_fmac_f64_e32 v[16:17], v[14:15], v[56:57]
	s_waitcnt vmcnt(2)
	v_mul_f64 v[14:15], v[12:13], v[62:63]
	v_fmac_f64_e32 v[48:49], v[18:19], v[52:53]
	v_fma_f64 v[50:51], v[4:5], v[60:61], -v[14:15]
	v_mul_f64 v[52:53], v[4:5], v[62:63]
	s_waitcnt vmcnt(1) lgkmcnt(0)
	v_mul_f64 v[4:5], v[6:7], v[66:67]
	v_fma_f64 v[54:55], v[0:1], v[64:65], -v[4:5]
	v_mul_f64 v[56:57], v[0:1], v[66:67]
	s_waitcnt vmcnt(0)
	v_mul_f64 v[0:1], v[8:9], v[70:71]
	v_fmac_f64_e32 v[52:53], v[12:13], v[60:61]
	v_fma_f64 v[58:59], v[2:3], v[68:69], -v[0:1]
	v_mul_f64 v[60:61], v[2:3], v[70:71]
	v_add_f64 v[2:3], v[72:73], v[10:11]
	v_add_f64 v[0:1], v[28:29], v[72:73]
	v_fmac_f64_e32 v[28:29], -0.5, v[2:3]
	v_mul_u32_u24_e32 v2, 0xd8, v75
	v_lshlrev_b32_sdwa v3, v30, v84 dst_sel:DWORD dst_unused:UNUSED_PAD src0_sel:DWORD src1_sel:BYTE_0
	v_add3_u32 v31, 0, v2, v3
	v_add_f64 v[2:3], v[80:81], -v[16:17]
	v_add_f64 v[0:1], v[0:1], v[10:11]
	v_fma_f64 v[4:5], s[0:1], v[2:3], v[28:29]
	v_fmac_f64_e32 v[28:29], s[6:7], v[2:3]
	v_add_f64 v[2:3], v[76:77], v[36:37]
	v_fmac_f64_e32 v[56:57], v[6:7], v[64:65]
	v_fmac_f64_e32 v[60:61], v[8:9], v[68:69]
	ds_read_b64 v[62:63], v74
	ds_read_b64 v[64:65], v94
	;; [unrolled: 1-line block ×5, first 2 shown]
	s_waitcnt lgkmcnt(0)
	; wave barrier
	s_waitcnt lgkmcnt(0)
	ds_write2_b64 v31, v[0:1], v[4:5] offset1:9
	v_add_f64 v[0:1], v[26:27], v[76:77]
	v_fmac_f64_e32 v[26:27], -0.5, v[2:3]
	v_mul_u32_u24_e32 v2, 0xd8, v85
	v_lshlrev_b32_sdwa v3, v30, v86 dst_sel:DWORD dst_unused:UNUSED_PAD src0_sel:DWORD src1_sel:BYTE_0
	v_add3_u32 v84, 0, v2, v3
	v_add_f64 v[2:3], v[38:39], -v[42:43]
	v_add_f64 v[0:1], v[0:1], v[36:37]
	v_fma_f64 v[4:5], s[0:1], v[2:3], v[26:27]
	v_fmac_f64_e32 v[26:27], s[6:7], v[2:3]
	v_add_f64 v[2:3], v[34:35], v[32:33]
	ds_write_b64 v31, v[28:29] offset:144
	ds_write2_b64 v84, v[0:1], v[4:5] offset1:9
	v_add_f64 v[0:1], v[24:25], v[34:35]
	v_fmac_f64_e32 v[24:25], -0.5, v[2:3]
	v_mul_u32_u24_e32 v2, 0xd8, v87
	v_lshlrev_b32_sdwa v3, v30, v88 dst_sel:DWORD dst_unused:UNUSED_PAD src0_sel:DWORD src1_sel:BYTE_0
	v_add3_u32 v85, 0, v2, v3
	v_add_f64 v[2:3], v[44:45], -v[40:41]
	v_add_f64 v[0:1], v[0:1], v[32:33]
	v_fma_f64 v[4:5], s[0:1], v[2:3], v[24:25]
	v_fmac_f64_e32 v[24:25], s[6:7], v[2:3]
	v_add_f64 v[2:3], v[46:47], v[54:55]
	ds_write_b64 v84, v[26:27] offset:144
	;; [unrolled: 12-line block ×3, first 2 shown]
	ds_write2_b64 v86, v[0:1], v[4:5] offset1:9
	v_add_f64 v[0:1], v[20:21], v[50:51]
	v_fmac_f64_e32 v[20:21], -0.5, v[2:3]
	v_mul_u32_u24_e32 v2, 0xd8, v91
	v_lshlrev_b32_e32 v3, 3, v99
	v_add3_u32 v87, 0, v2, v3
	v_add_f64 v[2:3], v[52:53], -v[60:61]
	v_add_f64 v[0:1], v[0:1], v[58:59]
	v_fma_f64 v[4:5], s[0:1], v[2:3], v[20:21]
	ds_write_b64 v86, v[22:23] offset:144
	ds_write2_b64 v87, v[0:1], v[4:5] offset1:9
	v_add_f64 v[0:1], v[64:65], v[80:81]
	v_add_f64 v[74:75], v[0:1], v[16:17]
	;; [unrolled: 1-line block ×3, first 2 shown]
	v_fmac_f64_e32 v[64:65], -0.5, v[0:1]
	v_add_f64 v[72:73], v[72:73], -v[10:11]
	v_fmac_f64_e32 v[20:21], s[6:7], v[2:3]
	v_fma_f64 v[78:79], s[6:7], v[72:73], v[64:65]
	v_fmac_f64_e32 v[64:65], s[0:1], v[72:73]
	ds_write_b64 v87, v[20:21] offset:144
	s_waitcnt lgkmcnt(0)
	; wave barrier
	s_waitcnt lgkmcnt(0)
	ds_read_b64 v[26:27], v98
	ds_read_b64 v[28:29], v82
	;; [unrolled: 1-line block ×3, first 2 shown]
	ds_read2_b64 v[0:3], v94 offset1:252
	ds_read2_b64 v[16:19], v100 offset0:59 offset1:122
	ds_read2_b64 v[20:23], v95 offset0:55 offset1:118
	;; [unrolled: 1-line block ×5, first 2 shown]
	s_waitcnt lgkmcnt(0)
	; wave barrier
	s_waitcnt lgkmcnt(0)
	ds_write_b64 v31, v[64:65] offset:144
	v_add_f64 v[64:65], v[66:67], v[38:39]
	v_add_f64 v[38:39], v[38:39], v[42:43]
	v_fmac_f64_e32 v[66:67], -0.5, v[38:39]
	v_add_f64 v[36:37], v[76:77], -v[36:37]
	v_add_f64 v[64:65], v[64:65], v[42:43]
	v_fma_f64 v[38:39], s[6:7], v[36:37], v[66:67]
	ds_write2_b64 v31, v[74:75], v[78:79] offset1:9
	ds_write2_b64 v84, v[64:65], v[38:39] offset1:9
	v_add_f64 v[38:39], v[44:45], v[40:41]
	v_fmac_f64_e32 v[66:67], s[0:1], v[36:37]
	v_add_f64 v[36:37], v[68:69], v[44:45]
	v_fmac_f64_e32 v[68:69], -0.5, v[38:39]
	v_add_f64 v[32:33], v[34:35], -v[32:33]
	v_add_f64 v[38:39], v[48:49], v[56:57]
	v_fma_f64 v[34:35], s[6:7], v[32:33], v[68:69]
	v_fmac_f64_e32 v[68:69], s[0:1], v[32:33]
	v_add_f64 v[32:33], v[70:71], v[48:49]
	v_fmac_f64_e32 v[70:71], -0.5, v[38:39]
	v_add_f64 v[38:39], v[46:47], -v[54:55]
	v_add_f64 v[42:43], v[52:53], v[60:61]
	v_add_f64 v[36:37], v[36:37], v[40:41]
	;; [unrolled: 1-line block ×3, first 2 shown]
	v_fma_f64 v[40:41], s[6:7], v[38:39], v[70:71]
	v_fmac_f64_e32 v[70:71], s[0:1], v[38:39]
	v_add_f64 v[38:39], v[62:63], v[52:53]
	v_fmac_f64_e32 v[62:63], -0.5, v[42:43]
	v_add_f64 v[42:43], v[50:51], -v[58:59]
	v_mov_b32_e32 v31, 19
	ds_write_b64 v84, v[66:67] offset:144
	v_add_f64 v[38:39], v[38:39], v[60:61]
	v_fma_f64 v[44:45], s[6:7], v[42:43], v[62:63]
	v_fmac_f64_e32 v[62:63], s[0:1], v[42:43]
	ds_write2_b64 v85, v[36:37], v[34:35] offset1:9
	ds_write_b64 v85, v[68:69] offset:144
	ds_write2_b64 v86, v[32:33], v[40:41] offset1:9
	ds_write_b64 v86, v[70:71] offset:144
	;; [unrolled: 2-line block ×3, first 2 shown]
	v_mul_lo_u16_sdwa v32, v140, v31 dst_sel:DWORD dst_unused:UNUSED_PAD src0_sel:BYTE_0 src1_sel:DWORD
	v_lshrrev_b16_e32 v99, 9, v32
	v_mul_lo_u16_e32 v32, 27, v99
	v_sub_u16_e32 v105, v140, v32
	v_mov_b32_e32 v44, 6
	v_lshlrev_b32_sdwa v48, v44, v105 dst_sel:DWORD dst_unused:UNUSED_PAD src0_sel:DWORD src1_sel:BYTE_0
	s_waitcnt lgkmcnt(0)
	; wave barrier
	s_waitcnt lgkmcnt(0)
	global_load_dwordx4 v[32:35], v48, s[4:5] offset:416
	v_mul_lo_u16_sdwa v36, v92, v31 dst_sel:DWORD dst_unused:UNUSED_PAD src0_sel:BYTE_0 src1_sel:DWORD
	v_lshrrev_b16_e32 v118, 9, v36
	v_mul_lo_u16_e32 v36, 27, v118
	v_sub_u16_e32 v119, v92, v36
	v_lshlrev_b32_sdwa v58, v44, v119 dst_sel:DWORD dst_unused:UNUSED_PAD src0_sel:DWORD src1_sel:BYTE_0
	global_load_dwordx4 v[36:39], v58, s[4:5] offset:416
	global_load_dwordx4 v[40:43], v48, s[4:5] offset:400
	v_mul_lo_u16_sdwa v31, v141, v31 dst_sel:DWORD dst_unused:UNUSED_PAD src0_sel:BYTE_0 src1_sel:DWORD
	v_lshrrev_b16_e32 v31, 9, v31
	v_mul_lo_u16_e32 v45, 27, v31
	v_sub_u16_e32 v120, v141, v45
	v_lshlrev_b32_sdwa v49, v44, v120 dst_sel:DWORD dst_unused:UNUSED_PAD src0_sel:DWORD src1_sel:BYTE_0
	global_load_dwordx4 v[44:47], v49, s[4:5] offset:384
	global_load_dwordx4 v[54:57], v58, s[4:5] offset:400
	global_load_dwordx4 v[62:65], v49, s[4:5] offset:400
	global_load_dwordx4 v[74:77], v48, s[4:5] offset:432
	global_load_dwordx4 v[84:87], v49, s[4:5] offset:416
	global_load_dwordx4 v[88:91], v58, s[4:5] offset:432
	global_load_dwordx4 v[106:109], v49, s[4:5] offset:432
	global_load_dwordx4 v[110:113], v48, s[4:5] offset:384
	global_load_dwordx4 v[114:117], v58, s[4:5] offset:384
	ds_read2_b64 v[48:51], v95 offset0:55 offset1:118
	s_mov_b32 s6, 0x372fe950
	s_mov_b32 s7, 0x3fd3c6ef
	v_cmp_gt_u32_e64 s[0:1], 9, v140
	s_waitcnt vmcnt(11) lgkmcnt(0)
	v_mul_f64 v[52:53], v[48:49], v[34:35]
	v_mul_f64 v[66:67], v[20:21], v[34:35]
	v_fma_f64 v[72:73], v[20:21], v[32:33], -v[52:53]
	v_fmac_f64_e32 v[66:67], v[48:49], v[32:33]
	ds_read2_b64 v[32:35], v100 offset0:59 offset1:122
	s_waitcnt vmcnt(10)
	v_mul_f64 v[20:21], v[50:51], v[38:39]
	v_fma_f64 v[60:61], v[22:23], v[36:37], -v[20:21]
	v_mul_f64 v[52:53], v[22:23], v[38:39]
	s_waitcnt vmcnt(9)
	v_mul_f64 v[70:71], v[18:19], v[42:43]
	s_waitcnt lgkmcnt(0)
	v_mul_f64 v[20:21], v[34:35], v[42:43]
	v_fma_f64 v[78:79], v[18:19], v[40:41], -v[20:21]
	ds_read2_b64 v[18:21], v100 offset0:185 offset1:248
	s_waitcnt vmcnt(8)
	v_mul_f64 v[22:23], v[32:33], v[46:47]
	v_fma_f64 v[48:49], v[16:17], v[44:45], -v[22:23]
	v_mul_f64 v[16:17], v[16:17], v[46:47]
	v_fmac_f64_e32 v[70:71], v[34:35], v[40:41]
	v_fmac_f64_e32 v[16:17], v[32:33], v[44:45]
	ds_read2_b64 v[32:35], v95 offset0:181 offset1:244
	s_waitcnt vmcnt(7) lgkmcnt(1)
	v_mul_f64 v[22:23], v[18:19], v[56:57]
	v_fma_f64 v[68:69], v[12:13], v[54:55], -v[22:23]
	v_mul_f64 v[58:59], v[12:13], v[56:57]
	s_waitcnt vmcnt(6)
	v_mul_f64 v[12:13], v[20:21], v[64:65]
	v_fmac_f64_e32 v[52:53], v[50:51], v[36:37]
	v_fma_f64 v[50:51], v[14:15], v[62:63], -v[12:13]
	s_waitcnt vmcnt(5) lgkmcnt(0)
	v_mul_f64 v[12:13], v[34:35], v[76:77]
	v_fma_f64 v[80:81], v[10:11], v[74:75], -v[12:13]
	v_mul_f64 v[76:77], v[10:11], v[76:77]
	ds_read2_b64 v[10:13], v102 offset0:51 offset1:114
	v_fmac_f64_e32 v[58:59], v[18:19], v[54:55]
	v_mul_f64 v[18:19], v[14:15], v[64:65]
	s_waitcnt vmcnt(4)
	v_mul_f64 v[14:15], v[32:33], v[86:87]
	v_fma_f64 v[56:57], v[8:9], v[84:85], -v[14:15]
	v_mul_f64 v[22:23], v[8:9], v[86:87]
	s_waitcnt vmcnt(3) lgkmcnt(0)
	v_mul_f64 v[8:9], v[10:11], v[90:91]
	v_fmac_f64_e32 v[76:77], v[34:35], v[74:75]
	v_fma_f64 v[74:75], v[4:5], v[88:89], -v[8:9]
	ds_read_b64 v[8:9], v82
	v_mul_f64 v[64:65], v[4:5], v[90:91]
	s_waitcnt vmcnt(2)
	v_mul_f64 v[4:5], v[12:13], v[108:109]
	v_fmac_f64_e32 v[18:19], v[20:21], v[62:63]
	ds_read_b64 v[20:21], v83
	v_fma_f64 v[62:63], v[6:7], v[106:107], -v[4:5]
	s_waitcnt vmcnt(1) lgkmcnt(1)
	v_mul_f64 v[4:5], v[8:9], v[112:113]
	v_fmac_f64_e32 v[22:23], v[32:33], v[84:85]
	v_fma_f64 v[84:85], v[28:29], v[110:111], -v[4:5]
	v_mul_f64 v[82:83], v[28:29], v[112:113]
	v_fmac_f64_e32 v[82:83], v[8:9], v[110:111]
	v_add_f64 v[4:5], v[78:79], v[72:73]
	v_add_f64 v[8:9], v[84:85], v[80:81]
	v_fmac_f64_e32 v[64:65], v[10:11], v[88:89]
	v_mul_f64 v[54:55], v[6:7], v[108:109]
	v_fma_f64 v[4:5], -0.5, v[4:5], v[0:1]
	v_add_f64 v[6:7], v[0:1], v[84:85]
	v_fmac_f64_e32 v[0:1], -0.5, v[8:9]
	v_add_f64 v[8:9], v[78:79], -v[84:85]
	v_add_f64 v[10:11], v[72:73], -v[80:81]
	;; [unrolled: 1-line block ×3, first 2 shown]
	v_fmac_f64_e32 v[54:55], v[12:13], v[106:107]
	v_add_f64 v[8:9], v[8:9], v[10:11]
	v_add_f64 v[10:11], v[82:83], -v[76:77]
	v_fma_f64 v[32:33], s[12:13], v[28:29], v[0:1]
	v_fmac_f64_e32 v[0:1], s[14:15], v[28:29]
	ds_read2_b64 v[12:15], v94 offset1:252
	ds_read_b64 v[86:87], v98
	v_fmac_f64_e32 v[32:33], s[8:9], v[10:11]
	v_fmac_f64_e32 v[0:1], s[18:19], v[10:11]
	;; [unrolled: 1-line block ×4, first 2 shown]
	v_mul_u32_u24_e32 v8, 0x438, v99
	v_lshlrev_b32_sdwa v9, v30, v105 dst_sel:DWORD dst_unused:UNUSED_PAD src0_sel:DWORD src1_sel:BYTE_0
	v_add3_u32 v105, 0, v8, v9
	s_waitcnt lgkmcnt(0)
	; wave barrier
	s_waitcnt lgkmcnt(0)
	ds_write2_b64 v105, v[32:33], v[0:1] offset0:54 offset1:81
	s_waitcnt vmcnt(0)
	v_mul_f64 v[0:1], v[14:15], v[116:117]
	v_fma_f64 v[90:91], v[2:3], v[114:115], -v[0:1]
	v_mul_f64 v[88:89], v[2:3], v[116:117]
	v_add_f64 v[0:1], v[84:85], -v[78:79]
	v_add_f64 v[2:3], v[80:81], -v[72:73]
	v_add_f64 v[0:1], v[0:1], v[2:3]
	v_add_f64 v[2:3], v[6:7], v[78:79]
	v_fma_f64 v[6:7], s[14:15], v[10:11], v[4:5]
	v_add_f64 v[2:3], v[2:3], v[72:73]
	v_fmac_f64_e32 v[6:7], s[8:9], v[28:29]
	v_fmac_f64_e32 v[4:5], s[12:13], v[10:11]
	v_add_f64 v[2:3], v[2:3], v[80:81]
	v_fmac_f64_e32 v[6:7], s[6:7], v[0:1]
	v_fmac_f64_e32 v[4:5], s[18:19], v[28:29]
	ds_write2_b64 v105, v[2:3], v[6:7] offset1:27
	v_fmac_f64_e32 v[4:5], s[6:7], v[0:1]
	v_add_f64 v[0:1], v[90:91], -v[68:69]
	v_add_f64 v[2:3], v[74:75], -v[60:61]
	v_fmac_f64_e32 v[88:89], v[14:15], v[114:115]
	v_add_f64 v[0:1], v[0:1], v[2:3]
	ds_write_b64 v105, v[4:5] offset:864
	v_mul_u32_u24_e32 v2, 0x438, v118
	v_lshlrev_b32_sdwa v3, v30, v119 dst_sel:DWORD dst_unused:UNUSED_PAD src0_sel:DWORD src1_sel:BYTE_0
	v_add_f64 v[4:5], v[68:69], v[60:61]
	v_add3_u32 v14, 0, v2, v3
	v_add_f64 v[2:3], v[26:27], v[90:91]
	v_fma_f64 v[4:5], -0.5, v[4:5], v[26:27]
	v_add_f64 v[6:7], v[88:89], -v[64:65]
	v_add_f64 v[2:3], v[2:3], v[68:69]
	v_fma_f64 v[8:9], s[14:15], v[6:7], v[4:5]
	v_add_f64 v[10:11], v[58:59], -v[52:53]
	v_add_f64 v[2:3], v[2:3], v[60:61]
	v_fmac_f64_e32 v[8:9], s[8:9], v[10:11]
	v_add_f64 v[2:3], v[2:3], v[74:75]
	v_fmac_f64_e32 v[8:9], s[6:7], v[0:1]
	ds_write2_b64 v14, v[2:3], v[8:9] offset1:27
	v_add_f64 v[2:3], v[90:91], v[74:75]
	v_fmac_f64_e32 v[26:27], -0.5, v[2:3]
	v_add_f64 v[2:3], v[68:69], -v[90:91]
	v_add_f64 v[8:9], v[60:61], -v[74:75]
	v_add_f64 v[2:3], v[2:3], v[8:9]
	v_fma_f64 v[8:9], s[12:13], v[10:11], v[26:27]
	v_fmac_f64_e32 v[26:27], s[14:15], v[10:11]
	v_fmac_f64_e32 v[4:5], s[12:13], v[6:7]
	;; [unrolled: 1-line block ×8, first 2 shown]
	v_add_f64 v[0:1], v[48:49], -v[50:51]
	v_add_f64 v[2:3], v[62:63], -v[56:57]
	v_add_f64 v[0:1], v[0:1], v[2:3]
	ds_write_b64 v14, v[4:5] offset:864
	v_lshlrev_b32_sdwa v2, v30, v120 dst_sel:DWORD dst_unused:UNUSED_PAD src0_sel:DWORD src1_sel:BYTE_0
	v_mul_u32_u24_e32 v3, 0x438, v31
	v_add_f64 v[4:5], v[50:51], v[56:57]
	v_add3_u32 v15, 0, v3, v2
	v_add_f64 v[2:3], v[24:25], v[48:49]
	v_fma_f64 v[126:127], -0.5, v[4:5], v[24:25]
	v_add_f64 v[4:5], v[16:17], -v[54:55]
	ds_write2_b64 v14, v[8:9], v[26:27] offset0:54 offset1:81
	v_add_f64 v[2:3], v[2:3], v[50:51]
	v_fma_f64 v[6:7], s[14:15], v[4:5], v[126:127]
	v_add_f64 v[8:9], v[18:19], -v[22:23]
	v_add_f64 v[2:3], v[2:3], v[56:57]
	v_fmac_f64_e32 v[6:7], s[8:9], v[8:9]
	v_add_f64 v[2:3], v[2:3], v[62:63]
	v_fmac_f64_e32 v[6:7], s[6:7], v[0:1]
	ds_write2_b64 v15, v[2:3], v[6:7] offset1:27
	v_add_f64 v[2:3], v[48:49], v[62:63]
	v_fmac_f64_e32 v[24:25], -0.5, v[2:3]
	v_add_f64 v[2:3], v[50:51], -v[48:49]
	v_add_f64 v[6:7], v[56:57], -v[62:63]
	v_add_f64 v[2:3], v[2:3], v[6:7]
	v_fma_f64 v[6:7], s[12:13], v[8:9], v[24:25]
	v_fmac_f64_e32 v[24:25], s[14:15], v[8:9]
	v_fmac_f64_e32 v[126:127], s[12:13], v[4:5]
	;; [unrolled: 1-line block ×8, first 2 shown]
	ds_write2_b64 v15, v[6:7], v[24:25] offset0:54 offset1:81
	ds_write_b64 v15, v[126:127] offset:864
	s_waitcnt lgkmcnt(0)
	; wave barrier
	s_waitcnt lgkmcnt(0)
	v_add_u32_e32 v108, 0x400, v94
	v_add_u32_e32 v107, 0xc00, v94
	;; [unrolled: 1-line block ×3, first 2 shown]
	ds_read_b64 v[98:99], v98
	ds_read_b64 v[134:135], v94 offset:6984
	ds_read2_b64 v[24:27], v94 offset1:135
	ds_read2_b64 v[32:35], v108 offset0:70 offset1:142
	ds_read2_b64 v[44:47], v100 offset0:77 offset1:149
	;; [unrolled: 1-line block ×5, first 2 shown]
	v_sub_u32_e32 v0, 0, v104
	v_add_u32_e32 v101, v101, v0
                                        ; implicit-def: $vgpr2_vgpr3
                                        ; implicit-def: $vgpr6_vgpr7
                                        ; implicit-def: $vgpr10_vgpr11
	s_and_saveexec_b64 s[20:21], s[0:1]
	s_cbranch_execz .LBB0_15
; %bb.14:
	ds_read_b64 v[126:127], v101
	ds_read2_b64 v[8:11], v100 offset0:5 offset1:140
	ds_read2_b64 v[4:7], v95 offset0:19 offset1:154
	;; [unrolled: 1-line block ×3, first 2 shown]
.LBB0_15:
	s_or_b64 exec, exec, s[20:21]
	v_add_f64 v[112:113], v[70:71], v[66:67]
	v_fma_f64 v[112:113], -0.5, v[112:113], v[12:13]
	v_add_f64 v[80:81], v[84:85], -v[80:81]
	v_fma_f64 v[84:85], s[12:13], v[80:81], v[112:113]
	v_add_f64 v[72:73], v[78:79], -v[72:73]
	v_add_f64 v[78:79], v[82:83], -v[70:71]
	;; [unrolled: 1-line block ×3, first 2 shown]
	v_fmac_f64_e32 v[112:113], s[14:15], v[80:81]
	v_fmac_f64_e32 v[84:85], s[18:19], v[72:73]
	v_add_f64 v[78:79], v[78:79], v[114:115]
	v_fmac_f64_e32 v[112:113], s[8:9], v[72:73]
	v_add_f64 v[110:111], v[12:13], v[82:83]
	v_fmac_f64_e32 v[84:85], s[6:7], v[78:79]
	v_fmac_f64_e32 v[112:113], s[6:7], v[78:79]
	v_add_f64 v[78:79], v[82:83], v[76:77]
	v_add_f64 v[110:111], v[110:111], v[70:71]
	v_fmac_f64_e32 v[12:13], -0.5, v[78:79]
	v_add_f64 v[110:111], v[110:111], v[66:67]
	v_fma_f64 v[78:79], s[14:15], v[72:73], v[12:13]
	v_add_f64 v[70:71], v[70:71], -v[82:83]
	v_add_f64 v[66:67], v[66:67], -v[76:77]
	v_fmac_f64_e32 v[12:13], s[12:13], v[72:73]
	v_fmac_f64_e32 v[78:79], s[18:19], v[80:81]
	v_add_f64 v[66:67], v[70:71], v[66:67]
	v_fmac_f64_e32 v[12:13], s[8:9], v[80:81]
	v_add_f64 v[70:71], v[58:59], v[52:53]
	v_fmac_f64_e32 v[78:79], s[6:7], v[66:67]
	v_fmac_f64_e32 v[12:13], s[6:7], v[66:67]
	v_add_f64 v[66:67], v[86:87], v[88:89]
	v_fma_f64 v[70:71], -0.5, v[70:71], v[86:87]
	v_add_f64 v[72:73], v[90:91], -v[74:75]
	v_add_f64 v[110:111], v[110:111], v[76:77]
	v_add_f64 v[66:67], v[66:67], v[58:59]
	v_fma_f64 v[74:75], s[12:13], v[72:73], v[70:71]
	v_add_f64 v[60:61], v[68:69], -v[60:61]
	v_add_f64 v[68:69], v[88:89], -v[58:59]
	;; [unrolled: 1-line block ×3, first 2 shown]
	v_fmac_f64_e32 v[70:71], s[14:15], v[72:73]
	v_add_f64 v[66:67], v[66:67], v[52:53]
	v_fmac_f64_e32 v[74:75], s[18:19], v[60:61]
	v_add_f64 v[68:69], v[68:69], v[76:77]
	v_fmac_f64_e32 v[70:71], s[8:9], v[60:61]
	v_add_f64 v[58:59], v[58:59], -v[88:89]
	v_add_f64 v[52:53], v[52:53], -v[64:65]
	v_fmac_f64_e32 v[74:75], s[6:7], v[68:69]
	v_fmac_f64_e32 v[70:71], s[6:7], v[68:69]
	v_add_f64 v[68:69], v[88:89], v[64:65]
	v_add_f64 v[52:53], v[58:59], v[52:53]
	;; [unrolled: 1-line block ×3, first 2 shown]
	v_fmac_f64_e32 v[86:87], -0.5, v[68:69]
	v_fma_f64 v[128:129], -0.5, v[58:59], v[20:21]
	v_add_f64 v[48:49], v[48:49], -v[62:63]
	v_fma_f64 v[68:69], s[14:15], v[60:61], v[86:87]
	v_fmac_f64_e32 v[86:87], s[12:13], v[60:61]
	v_fma_f64 v[58:59], s[12:13], v[48:49], v[128:129]
	v_add_f64 v[50:51], v[50:51], -v[56:57]
	v_add_f64 v[56:57], v[16:17], -v[18:19]
	;; [unrolled: 1-line block ×3, first 2 shown]
	v_fmac_f64_e32 v[128:129], s[14:15], v[48:49]
	v_fmac_f64_e32 v[58:59], s[18:19], v[50:51]
	v_add_f64 v[56:57], v[56:57], v[60:61]
	v_fmac_f64_e32 v[128:129], s[8:9], v[50:51]
	v_fmac_f64_e32 v[68:69], s[18:19], v[72:73]
	;; [unrolled: 1-line block ×5, first 2 shown]
	v_add_f64 v[56:57], v[16:17], v[54:55]
	v_fmac_f64_e32 v[68:69], s[6:7], v[52:53]
	v_fmac_f64_e32 v[86:87], s[6:7], v[52:53]
	v_add_f64 v[52:53], v[20:21], v[16:17]
	v_fmac_f64_e32 v[20:21], -0.5, v[56:57]
	v_add_f64 v[52:53], v[52:53], v[18:19]
	v_fma_f64 v[56:57], s[14:15], v[50:51], v[20:21]
	v_add_f64 v[16:17], v[18:19], -v[16:17]
	v_add_f64 v[18:19], v[22:23], -v[54:55]
	v_add_f64 v[52:53], v[52:53], v[22:23]
	v_fmac_f64_e32 v[56:57], s[18:19], v[48:49]
	v_add_f64 v[16:17], v[16:17], v[18:19]
	v_fmac_f64_e32 v[20:21], s[12:13], v[50:51]
	v_add_f64 v[66:67], v[66:67], v[64:65]
	v_add_f64 v[52:53], v[52:53], v[54:55]
	v_fmac_f64_e32 v[56:57], s[6:7], v[16:17]
	v_fmac_f64_e32 v[20:21], s[8:9], v[48:49]
	;; [unrolled: 1-line block ×3, first 2 shown]
	s_waitcnt lgkmcnt(0)
	; wave barrier
	s_waitcnt lgkmcnt(0)
	ds_write2_b64 v105, v[110:111], v[84:85] offset1:27
	ds_write2_b64 v105, v[78:79], v[12:13] offset0:54 offset1:81
	ds_write_b64 v105, v[112:113] offset:864
	ds_write2_b64 v14, v[66:67], v[74:75] offset1:27
	ds_write2_b64 v14, v[68:69], v[86:87] offset0:54 offset1:81
	ds_write_b64 v14, v[70:71] offset:864
	;; [unrolled: 3-line block ×3, first 2 shown]
	s_waitcnt lgkmcnt(0)
	; wave barrier
	s_waitcnt lgkmcnt(0)
	ds_read2_b64 v[48:51], v94 offset1:135
	ds_read2_b64 v[56:59], v108 offset0:70 offset1:142
	ds_read2_b64 v[68:71], v100 offset0:77 offset1:149
	;; [unrolled: 1-line block ×5, first 2 shown]
	v_add_u32_e32 v12, v93, v103
	ds_read_b64 v[136:137], v12
	ds_read_b64 v[138:139], v94 offset:6984
                                        ; implicit-def: $vgpr14_vgpr15
                                        ; implicit-def: $vgpr18_vgpr19
                                        ; implicit-def: $vgpr22_vgpr23
	s_and_saveexec_b64 s[6:7], s[0:1]
	s_cbranch_execz .LBB0_17
; %bb.16:
	v_add_u32_e32 v12, 0x800, v94
	ds_read2_b64 v[20:23], v12 offset0:5 offset1:140
	v_add_u32_e32 v12, 0x1000, v94
	ds_read2_b64 v[16:19], v12 offset0:19 offset1:154
	v_add_u32_e32 v12, 0x1800, v94
	ds_read_b64 v[128:129], v101
	ds_read2_b64 v[12:15], v12 offset0:33 offset1:168
.LBB0_17:
	s_or_b64 exec, exec, s[6:7]
	s_and_saveexec_b64 s[6:7], vcc
	s_cbranch_execz .LBB0_20
; %bb.18:
	v_mul_i32_i24_e32 v130, 6, v92
	v_mov_b32_e32 v131, 0
	v_lshl_add_u64 v[100:101], v[130:131], 4, s[4:5]
	global_load_dwordx4 v[72:75], v[100:101], off offset:2160
	global_load_dwordx4 v[76:79], v[100:101], off offset:2144
	;; [unrolled: 1-line block ×6, first 2 shown]
	v_mul_lo_u32 v100, s3, v96
	v_mul_lo_u32 v97, s2, v97
	v_mad_u64_u32 v[132:133], s[2:3], s2, v96, 0
	v_mul_u32_u24_e32 v96, 6, v140
	v_lshlrev_b32_e32 v96, 4, v96
	v_add3_u32 v133, v133, v97, v100
	global_load_dwordx4 v[100:103], v96, s[4:5] offset:2160
	global_load_dwordx4 v[112:115], v96, s[4:5] offset:2144
	global_load_dwordx4 v[108:111], v96, s[4:5] offset:2128
	global_load_dwordx4 v[104:107], v96, s[4:5] offset:2112
	global_load_dwordx4 v[116:119], v96, s[4:5] offset:2192
	global_load_dwordx4 v[120:123], v96, s[4:5] offset:2176
	s_mov_b32 s8, 0xe976ee23
	s_mov_b32 s9, 0xbfe11646
	;; [unrolled: 1-line block ×21, first 2 shown]
	s_movk_i32 s31, 0x87
	s_waitcnt vmcnt(11) lgkmcnt(3)
	v_mul_f64 v[96:97], v[60:61], v[74:75]
	s_waitcnt vmcnt(10)
	v_mul_f64 v[142:143], v[64:65], v[78:79]
	s_waitcnt vmcnt(9)
	v_mul_f64 v[144:145], v[68:69], v[82:83]
	s_waitcnt vmcnt(8) lgkmcnt(2)
	v_mul_f64 v[146:147], v[52:53], v[94:95]
	v_mul_f64 v[82:83], v[44:45], v[82:83]
	s_waitcnt vmcnt(7)
	v_mul_f64 v[148:149], v[56:57], v[86:87]
	v_mul_f64 v[94:95], v[28:29], v[94:95]
	s_waitcnt vmcnt(6) lgkmcnt(0)
	v_mul_f64 v[150:151], v[138:139], v[90:91]
	v_mul_f64 v[86:87], v[32:33], v[86:87]
	;; [unrolled: 1-line block ×5, first 2 shown]
	v_fma_f64 v[40:41], v[40:41], v[76:77], -v[142:143]
	v_fma_f64 v[36:37], v[36:37], v[72:73], -v[96:97]
	;; [unrolled: 1-line block ×3, first 2 shown]
	v_fmac_f64_e32 v[82:83], v[68:69], v[80:81]
	v_fma_f64 v[28:29], v[28:29], v[92:93], -v[146:147]
	v_fmac_f64_e32 v[94:95], v[52:53], v[92:93]
	v_fma_f64 v[52:53], v[134:135], v[88:89], -v[150:151]
	v_fma_f64 v[32:33], v[32:33], v[84:85], -v[148:149]
	v_fmac_f64_e32 v[86:87], v[56:57], v[84:85]
	v_fmac_f64_e32 v[90:91], v[138:139], v[88:89]
	;; [unrolled: 1-line block ×4, first 2 shown]
	v_add_f64 v[56:57], v[36:37], -v[40:41]
	v_add_f64 v[60:61], v[44:45], -v[28:29]
	;; [unrolled: 1-line block ×3, first 2 shown]
	v_add_f64 v[72:73], v[82:83], v[94:95]
	v_add_f64 v[36:37], v[36:37], v[40:41]
	;; [unrolled: 1-line block ×6, first 2 shown]
	v_add_f64 v[44:45], v[74:75], -v[78:79]
	v_add_f64 v[74:75], v[86:87], -v[90:91]
	v_add_f64 v[84:85], v[72:73], v[40:41]
	v_add_f64 v[86:87], v[28:29], v[32:33]
	v_add_f64 v[52:53], v[82:83], -v[94:95]
	v_add_f64 v[76:77], v[56:57], v[60:61]
	v_add_f64 v[78:79], v[56:57], -v[60:61]
	v_add_f64 v[80:81], v[68:69], -v[72:73]
	;; [unrolled: 1-line block ×5, first 2 shown]
	v_add_f64 v[68:69], v[68:69], v[84:85]
	v_add_f64 v[36:37], v[36:37], v[86:87]
	v_add_f64 v[56:57], v[64:65], -v[56:57]
	v_add_f64 v[60:61], v[60:61], -v[64:65]
	v_add_f64 v[64:65], v[76:77], v[64:65]
	v_mul_f64 v[84:85], v[78:79], s[8:9]
	v_add_f64 v[78:79], v[136:137], v[68:69]
	v_add_f64 v[76:77], v[98:99], v[36:37]
	v_mov_b64_e32 v[86:87], v[78:79]
	v_mov_b64_e32 v[92:93], v[76:77]
	v_fmac_f64_e32 v[86:87], s[14:15], v[68:69]
	v_fmac_f64_e32 v[92:93], s[14:15], v[36:37]
	v_add_f64 v[36:37], v[72:73], -v[40:41]
	v_add_f64 v[40:41], v[44:45], v[52:53]
	v_mul_f64 v[68:69], v[80:81], s[12:13]
	v_mul_f64 v[72:73], v[82:83], s[18:19]
	v_add_f64 v[40:41], v[40:41], v[74:75]
	v_add_f64 v[28:29], v[28:29], -v[32:33]
	v_add_f64 v[32:33], v[44:45], -v[52:53]
	;; [unrolled: 1-line block ×4, first 2 shown]
	v_fma_f64 v[74:75], s[12:13], v[80:81], v[72:73]
	v_fma_f64 v[72:73], v[36:37], s[24:25], -v[72:73]
	v_fma_f64 v[36:37], v[36:37], s[26:27], -v[68:69]
	v_mul_f64 v[68:69], v[60:61], s[20:21]
	v_fma_f64 v[68:69], v[56:57], s[22:23], -v[68:69]
	v_fma_f64 v[56:57], s[6:7], v[56:57], v[84:85]
	v_fma_f64 v[60:61], v[60:61], s[20:21], -v[84:85]
	v_fmac_f64_e32 v[56:57], s[2:3], v[64:65]
	v_mul_f64 v[32:33], v[32:33], s[8:9]
	v_fmac_f64_e32 v[68:69], s[2:3], v[64:65]
	v_fmac_f64_e32 v[60:61], s[2:3], v[64:65]
	v_mul_f64 v[64:65], v[52:53], s[20:21]
	v_fma_f64 v[64:65], v[44:45], s[22:23], -v[64:65]
	v_fma_f64 v[44:45], s[6:7], v[44:45], v[32:33]
	v_fma_f64 v[32:33], v[52:53], s[20:21], -v[32:33]
	v_mul_f64 v[52:53], v[88:89], s[12:13]
	v_mul_f64 v[80:81], v[90:91], s[18:19]
	v_add_f64 v[94:95], v[72:73], v[86:87]
	v_fma_f64 v[72:73], s[12:13], v[88:89], v[80:81]
	v_fma_f64 v[80:81], v[28:29], s[24:25], -v[80:81]
	v_fma_f64 v[28:29], v[28:29], s[26:27], -v[52:53]
	v_fmac_f64_e32 v[32:33], s[2:3], v[40:41]
	v_add_f64 v[28:29], v[28:29], v[92:93]
	v_add_f64 v[96:97], v[74:75], v[86:87]
	;; [unrolled: 1-line block ×4, first 2 shown]
	v_fmac_f64_e32 v[44:45], s[2:3], v[40:41]
	v_add_f64 v[98:99], v[80:81], v[92:93]
	v_add_f64 v[84:85], v[32:33], v[28:29]
	v_add_f64 v[88:89], v[28:29], -v[32:33]
	v_fmac_f64_e32 v[64:65], s[2:3], v[40:41]
	s_waitcnt vmcnt(5)
	v_mul_f64 v[28:29], v[66:67], v[102:103]
	s_waitcnt vmcnt(3)
	v_mul_f64 v[32:33], v[58:59], v[110:111]
	v_add_f64 v[74:75], v[56:57], v[96:97]
	v_add_f64 v[72:73], v[134:135], -v[44:45]
	v_add_f64 v[86:87], v[36:37], -v[60:61]
	v_add_f64 v[90:91], v[60:61], v[36:37]
	v_add_f64 v[80:81], v[98:99], -v[64:65]
	v_add_f64 v[92:93], v[64:65], v[98:99]
	v_add_f64 v[98:99], v[96:97], -v[56:57]
	v_add_f64 v[96:97], v[44:45], v[134:135]
	v_fma_f64 v[36:37], v[42:43], v[100:101], -v[28:29]
	v_mul_f64 v[28:29], v[70:71], v[114:115]
	v_fma_f64 v[44:45], v[34:35], v[108:109], -v[32:33]
	s_waitcnt vmcnt(0)
	v_mul_f64 v[32:33], v[62:63], v[122:123]
	v_fma_f64 v[40:41], v[46:47], v[112:113], -v[28:29]
	v_fma_f64 v[52:53], v[38:39], v[120:121], -v[32:33]
	v_mul_f64 v[60:61], v[50:51], v[106:107]
	v_mul_f64 v[64:65], v[54:55], v[118:119]
	;; [unrolled: 1-line block ×3, first 2 shown]
	v_add_f64 v[28:29], v[36:37], -v[40:41]
	v_mul_f64 v[46:47], v[46:47], v[114:115]
	v_add_f64 v[56:57], v[44:45], -v[52:53]
	v_fma_f64 v[60:61], v[26:27], v[104:105], -v[60:61]
	v_fma_f64 v[64:65], v[30:31], v[116:117], -v[64:65]
	v_fmac_f64_e32 v[42:43], v[66:67], v[100:101]
	v_mul_f64 v[100:101], v[26:27], v[106:107]
	v_mul_f64 v[30:31], v[30:31], v[118:119]
	v_add_f64 v[82:83], v[68:69], v[94:95]
	v_add_f64 v[94:95], v[94:95], -v[68:69]
	v_fmac_f64_e32 v[46:47], v[70:71], v[112:113]
	v_add_f64 v[32:33], v[28:29], v[56:57]
	v_add_f64 v[68:69], v[60:61], -v[64:65]
	v_mul_f64 v[34:35], v[34:35], v[110:111]
	v_mul_f64 v[38:39], v[38:39], v[122:123]
	v_fmac_f64_e32 v[100:101], v[50:51], v[104:105]
	v_fmac_f64_e32 v[30:31], v[54:55], v[116:117]
	v_add_f64 v[70:71], v[32:33], v[68:69]
	v_add_f64 v[32:33], v[28:29], -v[56:57]
	v_add_f64 v[112:113], v[68:69], -v[28:29]
	v_add_f64 v[28:29], v[42:43], v[46:47]
	v_fmac_f64_e32 v[34:35], v[58:59], v[108:109]
	v_fmac_f64_e32 v[38:39], v[62:63], v[120:121]
	v_add_f64 v[50:51], v[100:101], v[30:31]
	v_add_f64 v[58:59], v[34:35], v[38:39]
	v_add_f64 v[26:27], v[50:51], -v[28:29]
	v_mul_f64 v[102:103], v[32:33], s[8:9]
	v_add_f64 v[32:33], v[28:29], -v[58:59]
	v_mul_f64 v[54:55], v[26:27], s[18:19]
	v_mul_f64 v[62:63], v[32:33], s[12:13]
	v_fma_f64 v[26:27], s[12:13], v[32:33], v[54:55]
	v_add_f64 v[32:33], v[58:59], v[50:51]
	v_add_f64 v[32:33], v[28:29], v[32:33]
	;; [unrolled: 1-line block ×3, first 2 shown]
	v_mov_b64_e32 v[48:49], v[28:29]
	v_fmac_f64_e32 v[48:49], s[14:15], v[32:33]
	v_add_f64 v[104:105], v[26:27], v[48:49]
	v_add_f64 v[26:27], v[36:37], v[40:41]
	;; [unrolled: 1-line block ×6, first 2 shown]
	v_add_f64 v[36:37], v[26:27], -v[40:41]
	v_add_f64 v[60:61], v[52:53], -v[26:27]
	v_add_f64 v[26:27], v[24:25], v[64:65]
	v_mul_f64 v[60:61], v[60:61], s[18:19]
	v_mov_b64_e32 v[24:25], v[26:27]
	v_mul_f64 v[44:45], v[36:37], s[12:13]
	v_fma_f64 v[36:37], s[12:13], v[36:37], v[60:61]
	v_fmac_f64_e32 v[24:25], s[14:15], v[64:65]
	v_add_f64 v[64:65], v[36:37], v[24:25]
	v_add_f64 v[36:37], v[42:43], -v[46:47]
	v_add_f64 v[34:35], v[34:35], -v[38:39]
	v_add_f64 v[38:39], v[36:37], v[34:35]
	v_add_f64 v[42:43], v[100:101], -v[30:31]
	v_add_f64 v[38:39], v[38:39], v[42:43]
	v_add_f64 v[30:31], v[36:37], -v[34:35]
	v_add_f64 v[100:101], v[42:43], -v[36:37]
	;; [unrolled: 1-line block ×3, first 2 shown]
	v_mul_f64 v[46:47], v[30:31], s[8:9]
	v_add_f64 v[52:53], v[40:41], -v[52:53]
	v_mul_f64 v[34:35], v[42:43], s[20:21]
	v_fma_f64 v[106:107], s[6:7], v[100:101], v[46:47]
	v_fma_f64 v[40:41], v[52:53], s[24:25], -v[60:61]
	v_fma_f64 v[60:61], v[100:101], s[22:23], -v[34:35]
	;; [unrolled: 1-line block ×3, first 2 shown]
	v_fmac_f64_e32 v[106:107], s[2:3], v[38:39]
	v_fmac_f64_e32 v[60:61], s[2:3], v[38:39]
	;; [unrolled: 1-line block ×3, first 2 shown]
	v_fma_f64 v[38:39], v[52:53], s[26:27], -v[44:45]
	v_add_f64 v[50:51], v[58:59], -v[50:51]
	v_add_f64 v[58:59], v[40:41], v[24:25]
	v_add_f64 v[24:25], v[38:39], v[24:25]
	v_add_f64 v[56:57], v[56:57], -v[68:69]
	v_add_f64 v[38:39], v[42:43], v[24:25]
	v_add_f64 v[42:43], v[24:25], -v[42:43]
	v_mul_hi_u32 v24, v140, s30
	v_mul_f64 v[36:37], v[56:57], s[20:21]
	v_lshrrev_b32_e32 v24, 7, v24
	v_fma_f64 v[68:69], v[112:113], s[22:23], -v[36:37]
	v_fma_f64 v[36:37], v[50:51], s[24:25], -v[54:55]
	;; [unrolled: 1-line block ×4, first 2 shown]
	v_mul_lo_u32 v24, v24, s31
	v_fmac_f64_e32 v[68:69], s[2:3], v[70:71]
	v_add_f64 v[54:55], v[36:37], v[48:49]
	v_add_f64 v[48:49], v[40:41], v[48:49]
	v_fmac_f64_e32 v[50:51], s[2:3], v[70:71]
	v_sub_u32_e32 v56, v140, v24
	v_add_f64 v[36:37], v[68:69], v[54:55]
	v_add_f64 v[40:41], v[48:49], -v[50:51]
	v_add_f64 v[44:45], v[50:51], v[48:49]
	v_add_f64 v[48:49], v[54:55], -v[68:69]
	v_mad_u64_u32 v[54:55], s[28:29], s16, v56, 0
	v_mov_b32_e32 v24, v55
	v_mad_u64_u32 v[24:25], s[28:29], s17, v56, v[24:25]
	v_mov_b32_e32 v55, v24
	v_lshl_add_u64 v[24:25], v[132:133], 4, s[10:11]
	v_lshl_add_u64 v[24:25], v[124:125], 4, v[24:25]
	;; [unrolled: 1-line block ×3, first 2 shown]
	global_store_dwordx4 v[54:55], v[26:29], off
	v_fma_f64 v[66:67], s[6:7], v[112:113], v[102:103]
	v_fmac_f64_e32 v[66:67], s[2:3], v[70:71]
	v_add_u32_e32 v29, 0x87, v56
	v_mad_u64_u32 v[26:27], s[10:11], s16, v29, 0
	v_mov_b32_e32 v28, v27
	v_mad_u64_u32 v[28:29], s[10:11], s17, v29, v[28:29]
	v_mov_b32_e32 v27, v28
	v_add_f64 v[52:53], v[104:105], -v[66:67]
	v_add_f64 v[50:51], v[106:107], v[64:65]
	v_lshl_add_u64 v[26:27], v[26:27], 4, v[24:25]
	v_add_u32_e32 v29, 0x10e, v56
	global_store_dwordx4 v[26:27], v[50:53], off
	v_mad_u64_u32 v[26:27], s[10:11], s16, v29, 0
	v_mov_b32_e32 v28, v27
	v_mad_u64_u32 v[28:29], s[10:11], s17, v29, v[28:29]
	v_mov_b32_e32 v27, v28
	v_add_f64 v[46:47], v[60:61], v[58:59]
	v_lshl_add_u64 v[26:27], v[26:27], 4, v[24:25]
	v_add_u32_e32 v29, 0x195, v56
	global_store_dwordx4 v[26:27], v[46:49], off
	v_mad_u64_u32 v[26:27], s[10:11], s16, v29, 0
	v_mov_b32_e32 v28, v27
	v_mad_u64_u32 v[28:29], s[10:11], s17, v29, v[28:29]
	v_mov_b32_e32 v27, v28
	v_lshl_add_u64 v[26:27], v[26:27], 4, v[24:25]
	v_add_u32_e32 v29, 0x21c, v56
	global_store_dwordx4 v[26:27], v[42:45], off
	v_mad_u64_u32 v[26:27], s[10:11], s16, v29, 0
	v_mov_b32_e32 v28, v27
	v_mad_u64_u32 v[28:29], s[10:11], s17, v29, v[28:29]
	v_mov_b32_e32 v27, v28
	;; [unrolled: 7-line block ×3, first 2 shown]
	v_add_f64 v[34:35], v[58:59], -v[60:61]
	v_lshl_add_u64 v[26:27], v[26:27], 4, v[24:25]
	v_add_u32_e32 v29, 0x32a, v56
	global_store_dwordx4 v[26:27], v[34:37], off
	v_mad_u64_u32 v[26:27], s[10:11], s16, v29, 0
	v_mov_b32_e32 v28, v27
	v_mad_u64_u32 v[28:29], s[10:11], s17, v29, v[28:29]
	v_mov_b32_e32 v27, v28
	v_add_f64 v[32:33], v[66:67], v[104:105]
	v_add_f64 v[30:31], v[64:65], -v[106:107]
	v_lshl_add_u64 v[26:27], v[26:27], 4, v[24:25]
	global_store_dwordx4 v[26:27], v[30:33], off
	v_add_u32_e32 v26, 63, v140
	v_mul_hi_u32 v27, v26, s30
	v_lshrrev_b32_e32 v27, 7, v27
	v_mul_lo_u32 v28, v27, s31
	v_sub_u32_e32 v26, v26, v28
	s_movk_i32 s10, 0x3b1
	v_mad_u64_u32 v[26:27], s[10:11], v27, s10, v[26:27]
	v_mad_u64_u32 v[28:29], s[10:11], s16, v26, 0
	v_mov_b32_e32 v30, v29
	v_mad_u64_u32 v[30:31], s[10:11], s17, v26, v[30:31]
	v_mov_b32_e32 v29, v30
	v_lshl_add_u64 v[28:29], v[28:29], 4, v[24:25]
	v_add_u32_e32 v27, 0x87, v26
	global_store_dwordx4 v[28:29], v[76:79], off
	v_mad_u64_u32 v[28:29], s[10:11], s16, v27, 0
	v_mov_b32_e32 v30, v29
	v_mad_u64_u32 v[30:31], s[10:11], s17, v27, v[30:31]
	v_mov_b32_e32 v29, v30
	v_lshl_add_u64 v[28:29], v[28:29], 4, v[24:25]
	v_add_u32_e32 v27, 0x10e, v26
	global_store_dwordx4 v[28:29], v[96:99], off
	v_mad_u64_u32 v[28:29], s[10:11], s16, v27, 0
	v_mov_b32_e32 v30, v29
	v_mad_u64_u32 v[30:31], s[10:11], s17, v27, v[30:31]
	v_mov_b32_e32 v29, v30
	v_lshl_add_u64 v[28:29], v[28:29], 4, v[24:25]
	v_add_u32_e32 v27, 0x195, v26
	global_store_dwordx4 v[28:29], v[92:95], off
	v_mad_u64_u32 v[28:29], s[10:11], s16, v27, 0
	v_mov_b32_e32 v30, v29
	v_mad_u64_u32 v[30:31], s[10:11], s17, v27, v[30:31]
	v_mov_b32_e32 v29, v30
	v_lshl_add_u64 v[28:29], v[28:29], 4, v[24:25]
	v_add_u32_e32 v27, 0x21c, v26
	global_store_dwordx4 v[28:29], v[88:91], off
	v_mad_u64_u32 v[28:29], s[10:11], s16, v27, 0
	v_mov_b32_e32 v30, v29
	v_mad_u64_u32 v[30:31], s[10:11], s17, v27, v[30:31]
	v_mov_b32_e32 v29, v30
	v_lshl_add_u64 v[28:29], v[28:29], 4, v[24:25]
	v_add_u32_e32 v27, 0x2a3, v26
	global_store_dwordx4 v[28:29], v[84:87], off
	v_mad_u64_u32 v[28:29], s[10:11], s16, v27, 0
	v_mov_b32_e32 v30, v29
	v_mad_u64_u32 v[30:31], s[10:11], s17, v27, v[30:31]
	v_mov_b32_e32 v29, v30
	v_lshl_add_u64 v[28:29], v[28:29], 4, v[24:25]
	global_store_dwordx4 v[28:29], v[80:83], off
	v_add_u32_e32 v29, 0x32a, v26
	v_mad_u64_u32 v[26:27], s[10:11], s16, v29, 0
	v_mov_b32_e32 v28, v27
	v_mad_u64_u32 v[28:29], s[10:11], s17, v29, v[28:29]
	v_mov_b32_e32 v27, v28
	v_lshl_add_u64 v[26:27], v[26:27], 4, v[24:25]
	global_store_dwordx4 v[26:27], v[72:75], off
	v_add_u32_e32 v26, 0x7e, v140
	v_cmp_gt_u32_e32 vcc, s31, v26
	s_and_b64 exec, exec, vcc
	s_cbranch_execz .LBB0_20
; %bb.19:
	v_add_u32_e32 v27, -9, v140
	v_cndmask_b32_e64 v27, v27, v141, s[0:1]
	v_mul_i32_i24_e32 v130, 6, v27
	v_lshl_add_u64 v[52:53], v[130:131], 4, s[4:5]
	global_load_dwordx4 v[28:31], v[52:53], off offset:2112
	global_load_dwordx4 v[32:35], v[52:53], off offset:2128
	;; [unrolled: 1-line block ×6, first 2 shown]
	s_waitcnt vmcnt(5)
	v_mul_f64 v[52:53], v[20:21], v[30:31]
	v_mul_f64 v[30:31], v[8:9], v[30:31]
	s_waitcnt vmcnt(4)
	v_mul_f64 v[54:55], v[22:23], v[34:35]
	v_mul_f64 v[34:35], v[10:11], v[34:35]
	;; [unrolled: 3-line block ×4, first 2 shown]
	v_mul_f64 v[56:57], v[16:17], v[38:39]
	v_mul_f64 v[38:39], v[4:5], v[38:39]
	;; [unrolled: 1-line block ×4, first 2 shown]
	v_fma_f64 v[8:9], v[8:9], v[28:29], -v[52:53]
	v_fmac_f64_e32 v[30:31], v[20:21], v[28:29]
	v_fma_f64 v[10:11], v[10:11], v[32:33], -v[54:55]
	v_fmac_f64_e32 v[34:35], v[22:23], v[32:33]
	;; [unrolled: 2-line block ×6, first 2 shown]
	v_add_f64 v[12:13], v[8:9], v[2:3]
	v_add_f64 v[14:15], v[30:31], v[50:51]
	;; [unrolled: 1-line block ×4, first 2 shown]
	v_add_f64 v[2:3], v[8:9], -v[2:3]
	v_add_f64 v[8:9], v[30:31], -v[50:51]
	;; [unrolled: 1-line block ×4, first 2 shown]
	v_add_f64 v[20:21], v[4:5], v[6:7]
	v_add_f64 v[22:23], v[38:39], v[42:43]
	v_add_f64 v[4:5], v[6:7], -v[4:5]
	v_add_f64 v[6:7], v[42:43], -v[38:39]
	v_add_f64 v[28:29], v[16:17], v[12:13]
	v_add_f64 v[30:31], v[18:19], v[14:15]
	v_add_f64 v[32:33], v[16:17], -v[12:13]
	v_add_f64 v[34:35], v[18:19], -v[14:15]
	v_add_f64 v[12:13], v[12:13], -v[20:21]
	v_add_f64 v[14:15], v[14:15], -v[22:23]
	v_add_f64 v[16:17], v[20:21], -v[16:17]
	v_add_f64 v[18:19], v[22:23], -v[18:19]
	v_add_f64 v[36:37], v[4:5], v[0:1]
	v_add_f64 v[38:39], v[6:7], v[10:11]
	v_add_f64 v[40:41], v[4:5], -v[0:1]
	v_add_f64 v[42:43], v[6:7], -v[10:11]
	;; [unrolled: 1-line block ×4, first 2 shown]
	v_add_f64 v[20:21], v[20:21], v[28:29]
	v_add_f64 v[22:23], v[22:23], v[30:31]
	v_add_f64 v[4:5], v[2:3], -v[4:5]
	v_add_f64 v[6:7], v[8:9], -v[6:7]
	v_add_f64 v[28:29], v[36:37], v[2:3]
	v_add_f64 v[8:9], v[38:39], v[8:9]
	v_mul_f64 v[12:13], v[12:13], s[18:19]
	v_mul_f64 v[14:15], v[14:15], s[18:19]
	;; [unrolled: 1-line block ×8, first 2 shown]
	v_add_f64 v[0:1], v[126:127], v[20:21]
	v_add_f64 v[2:3], v[128:129], v[22:23]
	v_fma_f64 v[16:17], s[12:13], v[16:17], v[12:13]
	v_fma_f64 v[30:31], v[32:33], s[26:27], -v[30:31]
	v_fma_f64 v[36:37], v[34:35], s[26:27], -v[36:37]
	;; [unrolled: 1-line block ×4, first 2 shown]
	v_fmac_f64_e32 v[14:15], s[12:13], v[18:19]
	v_fma_f64 v[34:35], s[6:7], v[4:5], v[38:39]
	v_fma_f64 v[18:19], v[44:45], s[20:21], -v[38:39]
	v_fma_f64 v[38:39], v[10:11], s[20:21], -v[40:41]
	v_fmac_f64_e32 v[40:41], s[6:7], v[6:7]
	v_fma_f64 v[42:43], v[4:5], s[22:23], -v[42:43]
	v_fma_f64 v[44:45], v[6:7], s[22:23], -v[46:47]
	v_mov_b64_e32 v[4:5], v[0:1]
	v_mov_b64_e32 v[6:7], v[2:3]
	v_fmac_f64_e32 v[4:5], s[14:15], v[20:21]
	v_fmac_f64_e32 v[6:7], s[14:15], v[22:23]
	v_add_f64 v[46:47], v[16:17], v[4:5]
	v_add_f64 v[48:49], v[14:15], v[6:7]
	;; [unrolled: 1-line block ×6, first 2 shown]
	v_fmac_f64_e32 v[34:35], s[2:3], v[28:29]
	v_fmac_f64_e32 v[18:19], s[2:3], v[28:29]
	;; [unrolled: 1-line block ×4, first 2 shown]
	v_mad_u64_u32 v[32:33], s[0:1], s16, v26, 0
	v_fmac_f64_e32 v[40:41], s[2:3], v[8:9]
	v_fmac_f64_e32 v[38:39], s[2:3], v[8:9]
	v_add_f64 v[6:7], v[48:49], -v[34:35]
	v_add_f64 v[8:9], v[44:45], v[22:23]
	v_add_f64 v[10:11], v[30:31], -v[42:43]
	v_add_f64 v[14:15], v[18:19], v[20:21]
	v_add_f64 v[18:19], v[20:21], -v[18:19]
	v_add_f64 v[20:21], v[22:23], -v[44:45]
	v_add_f64 v[22:23], v[42:43], v[30:31]
	v_add_f64 v[30:31], v[34:35], v[48:49]
	v_mov_b32_e32 v34, v33
	v_mad_u64_u32 v[26:27], s[0:1], s17, v26, v[34:35]
	v_mov_b32_e32 v33, v26
	v_lshl_add_u64 v[26:27], v[32:33], 4, v[24:25]
	global_store_dwordx4 v[26:27], v[0:3], off
	v_add_f64 v[4:5], v[40:41], v[46:47]
	v_add_f64 v[12:13], v[16:17], -v[38:39]
	v_add_u32_e32 v3, 0x105, v140
	v_mad_u64_u32 v[0:1], s[0:1], s16, v3, 0
	v_mov_b32_e32 v2, v1
	v_mad_u64_u32 v[2:3], s[0:1], s17, v3, v[2:3]
	v_mov_b32_e32 v1, v2
	v_lshl_add_u64 v[0:1], v[0:1], 4, v[24:25]
	v_add_u32_e32 v3, 0x18c, v140
	global_store_dwordx4 v[0:1], v[4:7], off
	v_mad_u64_u32 v[0:1], s[0:1], s16, v3, 0
	v_mov_b32_e32 v2, v1
	v_mad_u64_u32 v[2:3], s[0:1], s17, v3, v[2:3]
	v_mov_b32_e32 v1, v2
	v_lshl_add_u64 v[0:1], v[0:1], 4, v[24:25]
	v_add_u32_e32 v3, 0x213, v140
	global_store_dwordx4 v[0:1], v[8:11], off
	;; [unrolled: 7-line block ×3, first 2 shown]
	v_mad_u64_u32 v[0:1], s[0:1], s16, v3, 0
	v_mov_b32_e32 v2, v1
	v_mad_u64_u32 v[2:3], s[0:1], s17, v3, v[2:3]
	v_mov_b32_e32 v1, v2
	v_add_f64 v[16:17], v[38:39], v[16:17]
	v_lshl_add_u64 v[0:1], v[0:1], 4, v[24:25]
	v_add_u32_e32 v3, 0x321, v140
	global_store_dwordx4 v[0:1], v[16:19], off
	v_mad_u64_u32 v[0:1], s[0:1], s16, v3, 0
	v_mov_b32_e32 v2, v1
	v_mad_u64_u32 v[2:3], s[0:1], s17, v3, v[2:3]
	v_mov_b32_e32 v1, v2
	v_lshl_add_u64 v[0:1], v[0:1], 4, v[24:25]
	v_add_u32_e32 v3, 0x3a8, v140
	global_store_dwordx4 v[0:1], v[20:23], off
	v_mad_u64_u32 v[0:1], s[0:1], s16, v3, 0
	v_mov_b32_e32 v2, v1
	v_mad_u64_u32 v[2:3], s[0:1], s17, v3, v[2:3]
	v_mov_b32_e32 v1, v2
	v_add_f64 v[28:29], v[46:47], -v[40:41]
	v_lshl_add_u64 v[0:1], v[0:1], 4, v[24:25]
	global_store_dwordx4 v[0:1], v[28:31], off
.LBB0_20:
	s_endpgm
	.section	.rodata,"a",@progbits
	.p2align	6, 0x0
	.amdhsa_kernel fft_rtc_fwd_len945_factors_3_3_3_5_7_wgs_63_tpt_63_halfLds_dp_op_CI_CI_sbrr_dirReg
		.amdhsa_group_segment_fixed_size 0
		.amdhsa_private_segment_fixed_size 0
		.amdhsa_kernarg_size 104
		.amdhsa_user_sgpr_count 2
		.amdhsa_user_sgpr_dispatch_ptr 0
		.amdhsa_user_sgpr_queue_ptr 0
		.amdhsa_user_sgpr_kernarg_segment_ptr 1
		.amdhsa_user_sgpr_dispatch_id 0
		.amdhsa_user_sgpr_kernarg_preload_length 0
		.amdhsa_user_sgpr_kernarg_preload_offset 0
		.amdhsa_user_sgpr_private_segment_size 0
		.amdhsa_uses_dynamic_stack 0
		.amdhsa_enable_private_segment 0
		.amdhsa_system_sgpr_workgroup_id_x 1
		.amdhsa_system_sgpr_workgroup_id_y 0
		.amdhsa_system_sgpr_workgroup_id_z 0
		.amdhsa_system_sgpr_workgroup_info 0
		.amdhsa_system_vgpr_workitem_id 0
		.amdhsa_next_free_vgpr 152
		.amdhsa_next_free_sgpr 32
		.amdhsa_accum_offset 152
		.amdhsa_reserve_vcc 1
		.amdhsa_float_round_mode_32 0
		.amdhsa_float_round_mode_16_64 0
		.amdhsa_float_denorm_mode_32 3
		.amdhsa_float_denorm_mode_16_64 3
		.amdhsa_dx10_clamp 1
		.amdhsa_ieee_mode 1
		.amdhsa_fp16_overflow 0
		.amdhsa_tg_split 0
		.amdhsa_exception_fp_ieee_invalid_op 0
		.amdhsa_exception_fp_denorm_src 0
		.amdhsa_exception_fp_ieee_div_zero 0
		.amdhsa_exception_fp_ieee_overflow 0
		.amdhsa_exception_fp_ieee_underflow 0
		.amdhsa_exception_fp_ieee_inexact 0
		.amdhsa_exception_int_div_zero 0
	.end_amdhsa_kernel
	.text
.Lfunc_end0:
	.size	fft_rtc_fwd_len945_factors_3_3_3_5_7_wgs_63_tpt_63_halfLds_dp_op_CI_CI_sbrr_dirReg, .Lfunc_end0-fft_rtc_fwd_len945_factors_3_3_3_5_7_wgs_63_tpt_63_halfLds_dp_op_CI_CI_sbrr_dirReg
                                        ; -- End function
	.section	.AMDGPU.csdata,"",@progbits
; Kernel info:
; codeLenInByte = 12192
; NumSgprs: 38
; NumVgprs: 152
; NumAgprs: 0
; TotalNumVgprs: 152
; ScratchSize: 0
; MemoryBound: 1
; FloatMode: 240
; IeeeMode: 1
; LDSByteSize: 0 bytes/workgroup (compile time only)
; SGPRBlocks: 4
; VGPRBlocks: 18
; NumSGPRsForWavesPerEU: 38
; NumVGPRsForWavesPerEU: 152
; AccumOffset: 152
; Occupancy: 3
; WaveLimiterHint : 1
; COMPUTE_PGM_RSRC2:SCRATCH_EN: 0
; COMPUTE_PGM_RSRC2:USER_SGPR: 2
; COMPUTE_PGM_RSRC2:TRAP_HANDLER: 0
; COMPUTE_PGM_RSRC2:TGID_X_EN: 1
; COMPUTE_PGM_RSRC2:TGID_Y_EN: 0
; COMPUTE_PGM_RSRC2:TGID_Z_EN: 0
; COMPUTE_PGM_RSRC2:TIDIG_COMP_CNT: 0
; COMPUTE_PGM_RSRC3_GFX90A:ACCUM_OFFSET: 37
; COMPUTE_PGM_RSRC3_GFX90A:TG_SPLIT: 0
	.text
	.p2alignl 6, 3212836864
	.fill 256, 4, 3212836864
	.type	__hip_cuid_f1688ec7835cdaad,@object ; @__hip_cuid_f1688ec7835cdaad
	.section	.bss,"aw",@nobits
	.globl	__hip_cuid_f1688ec7835cdaad
__hip_cuid_f1688ec7835cdaad:
	.byte	0                               ; 0x0
	.size	__hip_cuid_f1688ec7835cdaad, 1

	.ident	"AMD clang version 19.0.0git (https://github.com/RadeonOpenCompute/llvm-project roc-6.4.0 25133 c7fe45cf4b819c5991fe208aaa96edf142730f1d)"
	.section	".note.GNU-stack","",@progbits
	.addrsig
	.addrsig_sym __hip_cuid_f1688ec7835cdaad
	.amdgpu_metadata
---
amdhsa.kernels:
  - .agpr_count:     0
    .args:
      - .actual_access:  read_only
        .address_space:  global
        .offset:         0
        .size:           8
        .value_kind:     global_buffer
      - .offset:         8
        .size:           8
        .value_kind:     by_value
      - .actual_access:  read_only
        .address_space:  global
        .offset:         16
        .size:           8
        .value_kind:     global_buffer
      - .actual_access:  read_only
        .address_space:  global
        .offset:         24
        .size:           8
        .value_kind:     global_buffer
      - .actual_access:  read_only
        .address_space:  global
        .offset:         32
        .size:           8
        .value_kind:     global_buffer
      - .offset:         40
        .size:           8
        .value_kind:     by_value
      - .actual_access:  read_only
        .address_space:  global
        .offset:         48
        .size:           8
        .value_kind:     global_buffer
      - .actual_access:  read_only
        .address_space:  global
        .offset:         56
        .size:           8
        .value_kind:     global_buffer
      - .offset:         64
        .size:           4
        .value_kind:     by_value
      - .actual_access:  read_only
        .address_space:  global
        .offset:         72
        .size:           8
        .value_kind:     global_buffer
      - .actual_access:  read_only
        .address_space:  global
        .offset:         80
        .size:           8
        .value_kind:     global_buffer
      - .actual_access:  read_only
        .address_space:  global
        .offset:         88
        .size:           8
        .value_kind:     global_buffer
      - .actual_access:  write_only
        .address_space:  global
        .offset:         96
        .size:           8
        .value_kind:     global_buffer
    .group_segment_fixed_size: 0
    .kernarg_segment_align: 8
    .kernarg_segment_size: 104
    .language:       OpenCL C
    .language_version:
      - 2
      - 0
    .max_flat_workgroup_size: 63
    .name:           fft_rtc_fwd_len945_factors_3_3_3_5_7_wgs_63_tpt_63_halfLds_dp_op_CI_CI_sbrr_dirReg
    .private_segment_fixed_size: 0
    .sgpr_count:     38
    .sgpr_spill_count: 0
    .symbol:         fft_rtc_fwd_len945_factors_3_3_3_5_7_wgs_63_tpt_63_halfLds_dp_op_CI_CI_sbrr_dirReg.kd
    .uniform_work_group_size: 1
    .uses_dynamic_stack: false
    .vgpr_count:     152
    .vgpr_spill_count: 0
    .wavefront_size: 64
amdhsa.target:   amdgcn-amd-amdhsa--gfx950
amdhsa.version:
  - 1
  - 2
...

	.end_amdgpu_metadata
